;; amdgpu-corpus repo=ROCm/hipCUB kind=compiled arch=gfx90a opt=O3
	.text
	.amdgcn_target "amdgcn-amd-amdhsa--gfx90a"
	.amdhsa_code_object_version 6
	.section	.text._Z9sort_keysILj256ELj7E12hip_bfloat16N10test_utils4lessEEvPT1_T2_,"axG",@progbits,_Z9sort_keysILj256ELj7E12hip_bfloat16N10test_utils4lessEEvPT1_T2_,comdat
	.protected	_Z9sort_keysILj256ELj7E12hip_bfloat16N10test_utils4lessEEvPT1_T2_ ; -- Begin function _Z9sort_keysILj256ELj7E12hip_bfloat16N10test_utils4lessEEvPT1_T2_
	.globl	_Z9sort_keysILj256ELj7E12hip_bfloat16N10test_utils4lessEEvPT1_T2_
	.p2align	8
	.type	_Z9sort_keysILj256ELj7E12hip_bfloat16N10test_utils4lessEEvPT1_T2_,@function
_Z9sort_keysILj256ELj7E12hip_bfloat16N10test_utils4lessEEvPT1_T2_: ; @_Z9sort_keysILj256ELj7E12hip_bfloat16N10test_utils4lessEEvPT1_T2_
; %bb.0:
	s_load_dwordx2 s[0:1], s[4:5], 0x0
	s_mul_i32 s2, s6, 0x700
	s_mov_b32 s3, 0
	s_lshl_b64 s[2:3], s[2:3], 1
	v_mul_u32_u24_e32 v0, 7, v0
	s_waitcnt lgkmcnt(0)
	s_add_u32 s4, s0, s2
	s_addc_u32 s5, s1, s3
	v_lshlrev_b32_e32 v3, 1, v0
	global_load_dwordx3 v[0:2], v3, s[4:5]
	global_load_ushort v4, v3, s[4:5] offset:12
	s_waitcnt vmcnt(1)
	v_and_b32_e32 v5, 0xffff0000, v0
	v_lshlrev_b32_e32 v6, 16, v0
	v_and_b32_e32 v8, 0xffff0000, v1
	v_lshlrev_b32_e32 v9, 16, v1
	;; [unrolled: 2-line block ×3, first 2 shown]
	v_lshrrev_b32_e32 v7, 16, v0
	v_lshrrev_b32_e32 v10, 16, v1
	;; [unrolled: 1-line block ×3, first 2 shown]
	v_cmp_lt_f32_e32 vcc, v5, v6
	v_cmp_lt_f32_e64 s[0:1], v8, v9
	v_cmp_lt_f32_e64 s[2:3], v11, v12
	v_cndmask_b32_e32 v5, v7, v0, vcc
	v_cndmask_b32_e64 v6, v10, v1, s[0:1]
	v_cndmask_b32_e64 v8, v2, v13, s[2:3]
	;; [unrolled: 1-line block ×3, first 2 shown]
	v_cndmask_b32_e32 v0, v0, v7, vcc
	v_lshlrev_b32_e32 v7, 16, v5
	v_lshlrev_b32_e32 v9, 16, v8
	;; [unrolled: 1-line block ×3, first 2 shown]
	v_cndmask_b32_e64 v2, v13, v2, s[2:3]
	v_lshlrev_b32_e32 v11, 16, v1
	s_waitcnt vmcnt(0)
	v_lshlrev_b32_e32 v14, 16, v4
	v_cmp_lt_f32_e32 vcc, v9, v10
	v_lshlrev_b32_e32 v12, 16, v2
	v_cmp_lt_f32_e64 s[0:1], v11, v7
	v_cndmask_b32_e32 v9, v6, v8, vcc
	v_cndmask_b32_e64 v7, v1, v5, s[0:1]
	v_cmp_lt_f32_e64 s[2:3], v14, v12
	v_lshlrev_b32_e32 v11, 16, v9
	v_cndmask_b32_e64 v12, v4, v2, s[2:3]
	v_cndmask_b32_e32 v6, v8, v6, vcc
	v_cndmask_b32_e64 v1, v5, v1, s[0:1]
	v_lshlrev_b32_e32 v5, 16, v7
	v_cndmask_b32_e64 v2, v2, v4, s[2:3]
	v_lshlrev_b32_e32 v10, 16, v0
	v_lshlrev_b32_e32 v4, 16, v6
	;; [unrolled: 1-line block ×3, first 2 shown]
	v_cmp_lt_f32_e32 vcc, v11, v5
	v_lshlrev_b32_e32 v11, 16, v2
	v_cmp_lt_f32_e64 s[0:1], v13, v10
	v_cmp_lt_f32_e64 s[2:3], v11, v4
	v_cndmask_b32_e32 v5, v7, v9, vcc
	v_cndmask_b32_e64 v10, v1, v0, s[0:1]
	v_cndmask_b32_e64 v4, v2, v6, s[2:3]
	v_lshlrev_b32_e32 v8, 16, v12
	v_lshlrev_b32_e32 v13, 16, v5
	v_cndmask_b32_e32 v7, v9, v7, vcc
	v_cndmask_b32_e64 v0, v0, v1, s[0:1]
	v_lshlrev_b32_e32 v1, 16, v10
	v_lshlrev_b32_e32 v9, 16, v4
	v_cndmask_b32_e64 v2, v6, v2, s[2:3]
	v_lshlrev_b32_e32 v6, 16, v7
	v_cmp_lt_f32_e32 vcc, v13, v1
	v_cmp_lt_f32_e64 s[0:1], v8, v9
	v_lshlrev_b32_e32 v9, 16, v2
	v_cndmask_b32_e32 v1, v10, v5, vcc
	v_cndmask_b32_e64 v8, v4, v12, s[0:1]
	v_cndmask_b32_e64 v4, v12, v4, s[0:1]
	v_cmp_lt_f32_e64 s[0:1], v9, v6
	v_lshlrev_b32_e32 v11, 16, v0
	v_lshlrev_b32_e32 v13, 16, v1
	v_cndmask_b32_e64 v6, v7, v2, s[0:1]
	v_cndmask_b32_e32 v5, v5, v10, vcc
	v_cmp_lt_f32_e32 vcc, v13, v11
	v_cndmask_b32_e64 v2, v2, v7, s[0:1]
	v_lshlrev_b32_e32 v7, 16, v6
	v_lshlrev_b32_e32 v11, 16, v5
	;; [unrolled: 1-line block ×3, first 2 shown]
	v_cndmask_b32_e32 v10, v1, v0, vcc
	v_cndmask_b32_e32 v0, v0, v1, vcc
	v_cmp_lt_f32_e32 vcc, v7, v11
	v_lshlrev_b32_e32 v7, 16, v2
	v_cndmask_b32_e32 v1, v6, v5, vcc
	v_cndmask_b32_e32 v5, v5, v6, vcc
	v_cmp_lt_f32_e32 vcc, v9, v7
	v_lshlrev_b32_e32 v11, 16, v10
	v_cndmask_b32_e32 v6, v8, v2, vcc
	v_cndmask_b32_e32 v2, v2, v8, vcc
	v_lshlrev_b32_e32 v8, 16, v5
	v_lshlrev_b32_e32 v12, 16, v4
	;; [unrolled: 1-line block ×4, first 2 shown]
	v_cmp_lt_f32_e32 vcc, v8, v11
	v_lshlrev_b32_e32 v11, 16, v2
	v_cndmask_b32_e32 v8, v5, v10, vcc
	v_cmp_lt_f32_e64 s[0:1], v12, v9
	v_cndmask_b32_e32 v5, v10, v5, vcc
	v_cmp_lt_f32_e32 vcc, v11, v7
	v_cndmask_b32_e64 v9, v6, v4, s[0:1]
	v_cndmask_b32_e32 v7, v2, v1, vcc
	v_cndmask_b32_e64 v4, v4, v6, s[0:1]
	v_cndmask_b32_e32 v1, v1, v2, vcc
	v_lshlrev_b32_e32 v2, 16, v5
	v_lshlrev_b32_e32 v6, 16, v0
	v_cmp_lt_f32_e32 vcc, v2, v6
	v_cndmask_b32_e32 v2, v5, v0, vcc
	v_cndmask_b32_e32 v0, v0, v5, vcc
	v_lshlrev_b32_e32 v5, 16, v1
	v_lshlrev_b32_e32 v6, 16, v8
	v_cmp_lt_f32_e32 vcc, v5, v6
	v_cndmask_b32_e32 v5, v1, v8, vcc
	;; [unrolled: 5-line block ×3, first 2 shown]
	v_cndmask_b32_e32 v7, v7, v9, vcc
	s_mov_b32 s0, 0x5040100
	v_perm_b32 v1, v5, v1, s0
	v_perm_b32 v0, v2, v0, s0
	;; [unrolled: 1-line block ×3, first 2 shown]
	global_store_short v3, v4, s[4:5] offset:12
	global_store_dwordx3 v3, v[0:2], s[4:5]
	s_endpgm
	.section	.rodata,"a",@progbits
	.p2align	6, 0x0
	.amdhsa_kernel _Z9sort_keysILj256ELj7E12hip_bfloat16N10test_utils4lessEEvPT1_T2_
		.amdhsa_group_segment_fixed_size 0
		.amdhsa_private_segment_fixed_size 0
		.amdhsa_kernarg_size 12
		.amdhsa_user_sgpr_count 6
		.amdhsa_user_sgpr_private_segment_buffer 1
		.amdhsa_user_sgpr_dispatch_ptr 0
		.amdhsa_user_sgpr_queue_ptr 0
		.amdhsa_user_sgpr_kernarg_segment_ptr 1
		.amdhsa_user_sgpr_dispatch_id 0
		.amdhsa_user_sgpr_flat_scratch_init 0
		.amdhsa_user_sgpr_kernarg_preload_length 0
		.amdhsa_user_sgpr_kernarg_preload_offset 0
		.amdhsa_user_sgpr_private_segment_size 0
		.amdhsa_uses_dynamic_stack 0
		.amdhsa_system_sgpr_private_segment_wavefront_offset 0
		.amdhsa_system_sgpr_workgroup_id_x 1
		.amdhsa_system_sgpr_workgroup_id_y 0
		.amdhsa_system_sgpr_workgroup_id_z 0
		.amdhsa_system_sgpr_workgroup_info 0
		.amdhsa_system_vgpr_workitem_id 0
		.amdhsa_next_free_vgpr 15
		.amdhsa_next_free_sgpr 7
		.amdhsa_accum_offset 16
		.amdhsa_reserve_vcc 1
		.amdhsa_reserve_flat_scratch 0
		.amdhsa_float_round_mode_32 0
		.amdhsa_float_round_mode_16_64 0
		.amdhsa_float_denorm_mode_32 3
		.amdhsa_float_denorm_mode_16_64 3
		.amdhsa_dx10_clamp 1
		.amdhsa_ieee_mode 1
		.amdhsa_fp16_overflow 0
		.amdhsa_tg_split 0
		.amdhsa_exception_fp_ieee_invalid_op 0
		.amdhsa_exception_fp_denorm_src 0
		.amdhsa_exception_fp_ieee_div_zero 0
		.amdhsa_exception_fp_ieee_overflow 0
		.amdhsa_exception_fp_ieee_underflow 0
		.amdhsa_exception_fp_ieee_inexact 0
		.amdhsa_exception_int_div_zero 0
	.end_amdhsa_kernel
	.section	.text._Z9sort_keysILj256ELj7E12hip_bfloat16N10test_utils4lessEEvPT1_T2_,"axG",@progbits,_Z9sort_keysILj256ELj7E12hip_bfloat16N10test_utils4lessEEvPT1_T2_,comdat
.Lfunc_end0:
	.size	_Z9sort_keysILj256ELj7E12hip_bfloat16N10test_utils4lessEEvPT1_T2_, .Lfunc_end0-_Z9sort_keysILj256ELj7E12hip_bfloat16N10test_utils4lessEEvPT1_T2_
                                        ; -- End function
	.section	.AMDGPU.csdata,"",@progbits
; Kernel info:
; codeLenInByte = 672
; NumSgprs: 11
; NumVgprs: 15
; NumAgprs: 0
; TotalNumVgprs: 15
; ScratchSize: 0
; MemoryBound: 0
; FloatMode: 240
; IeeeMode: 1
; LDSByteSize: 0 bytes/workgroup (compile time only)
; SGPRBlocks: 1
; VGPRBlocks: 1
; NumSGPRsForWavesPerEU: 11
; NumVGPRsForWavesPerEU: 15
; AccumOffset: 16
; Occupancy: 8
; WaveLimiterHint : 0
; COMPUTE_PGM_RSRC2:SCRATCH_EN: 0
; COMPUTE_PGM_RSRC2:USER_SGPR: 6
; COMPUTE_PGM_RSRC2:TRAP_HANDLER: 0
; COMPUTE_PGM_RSRC2:TGID_X_EN: 1
; COMPUTE_PGM_RSRC2:TGID_Y_EN: 0
; COMPUTE_PGM_RSRC2:TGID_Z_EN: 0
; COMPUTE_PGM_RSRC2:TIDIG_COMP_CNT: 0
; COMPUTE_PGM_RSRC3_GFX90A:ACCUM_OFFSET: 3
; COMPUTE_PGM_RSRC3_GFX90A:TG_SPLIT: 0
	.section	.text._Z9sort_keysILj256ELj6E6__halfN10test_utils4lessEEvPT1_T2_,"axG",@progbits,_Z9sort_keysILj256ELj6E6__halfN10test_utils4lessEEvPT1_T2_,comdat
	.protected	_Z9sort_keysILj256ELj6E6__halfN10test_utils4lessEEvPT1_T2_ ; -- Begin function _Z9sort_keysILj256ELj6E6__halfN10test_utils4lessEEvPT1_T2_
	.globl	_Z9sort_keysILj256ELj6E6__halfN10test_utils4lessEEvPT1_T2_
	.p2align	8
	.type	_Z9sort_keysILj256ELj6E6__halfN10test_utils4lessEEvPT1_T2_,@function
_Z9sort_keysILj256ELj6E6__halfN10test_utils4lessEEvPT1_T2_: ; @_Z9sort_keysILj256ELj6E6__halfN10test_utils4lessEEvPT1_T2_
; %bb.0:
	s_load_dwordx2 s[0:1], s[4:5], 0x0
	s_mul_i32 s2, s6, 0x600
	s_mov_b32 s3, 0
	s_lshl_b64 s[2:3], s[2:3], 1
	v_mul_u32_u24_e32 v0, 6, v0
	s_waitcnt lgkmcnt(0)
	s_add_u32 s2, s0, s2
	s_addc_u32 s3, s1, s3
	v_lshlrev_b32_e32 v8, 1, v0
	global_load_dwordx3 v[0:2], v8, s[2:3]
	s_waitcnt vmcnt(0)
	v_lshrrev_b32_e32 v3, 16, v1
	v_mov_b32_e32 v5, v1
	v_cmp_gt_f16_e32 vcc, v1, v3
	v_mov_b32_e32 v4, v3
	v_mov_b32_e32 v10, v1
	s_and_saveexec_b64 s[0:1], vcc
; %bb.1:
	v_mov_b32_e32 v4, v1
	v_mov_b32_e32 v5, v3
	;; [unrolled: 1-line block ×4, first 2 shown]
; %bb.2:
	s_or_b64 exec, exec, s[0:1]
	v_lshrrev_b32_e32 v7, 16, v2
	v_mov_b32_e32 v6, v7
	v_cmp_gt_f16_e32 vcc, v2, v7
	v_mov_b32_e32 v9, v2
	v_mov_b32_e32 v12, v2
	s_and_saveexec_b64 s[0:1], vcc
; %bb.3:
	v_mov_b32_e32 v9, v7
	v_mov_b32_e32 v7, v2
	;; [unrolled: 1-line block ×4, first 2 shown]
; %bb.4:
	s_or_b64 exec, exec, s[0:1]
	v_lshrrev_b32_e32 v11, 16, v0
	v_cmp_gt_f16_e32 vcc, v0, v11
	v_cndmask_b32_e32 v2, v11, v0, vcc
	v_cmp_gt_f16_e64 s[0:1], v2, v10
	v_mov_b32_e32 v1, v10
	s_and_saveexec_b64 s[4:5], s[0:1]
	s_xor_b64 s[0:1], exec, s[4:5]
; %bb.5:
	v_mov_b32_e32 v1, v2
	v_mov_b32_e32 v5, v2
	;; [unrolled: 1-line block ×3, first 2 shown]
; %bb.6:
	s_or_b64 exec, exec, s[0:1]
	v_cmp_ngt_f16_e64 s[0:1], v4, v12
	s_and_saveexec_b64 s[4:5], s[0:1]
	s_xor_b64 s[0:1], exec, s[4:5]
	s_or_saveexec_b64 s[0:1], s[0:1]
	v_mov_b32_e32 v10, v12
	s_xor_b64 exec, exec, s[0:1]
; %bb.7:
	v_mov_b32_e32 v10, v4
	v_mov_b32_e32 v3, v12
	;; [unrolled: 1-line block ×4, first 2 shown]
; %bb.8:
	s_or_b64 exec, exec, s[0:1]
	v_cmp_gt_f16_e64 s[0:1], v5, v3
	s_and_saveexec_b64 s[4:5], s[0:1]
; %bb.9:
	v_mov_b32_e32 v12, v5
	v_mov_b32_e32 v4, v5
	;; [unrolled: 1-line block ×5, first 2 shown]
; %bb.10:
	s_or_b64 exec, exec, s[4:5]
	v_cmp_gt_f16_e64 s[0:1], v9, v6
	v_mov_b32_e32 v12, v9
	s_and_saveexec_b64 s[4:5], s[0:1]
; %bb.11:
	v_mov_b32_e32 v12, v6
	v_mov_b32_e32 v7, v9
	;; [unrolled: 1-line block ×4, first 2 shown]
; %bb.12:
	s_or_b64 exec, exec, s[4:5]
	v_cndmask_b32_e32 v9, v0, v11, vcc
	v_cmp_gt_f16_e32 vcc, v9, v2
	v_cndmask_b32_e32 v11, v2, v9, vcc
	v_mov_b32_e32 v15, s3
	v_cndmask_b32_e32 v14, v2, v9, vcc
	v_cmp_gt_f16_e64 s[0:1], v11, v1
	v_mov_b32_e32 v13, v1
	s_and_saveexec_b64 s[4:5], s[0:1]
; %bb.13:
	v_mov_b32_e32 v13, v11
	v_mov_b32_e32 v5, v11
	;; [unrolled: 1-line block ×4, first 2 shown]
; %bb.14:
	s_or_b64 exec, exec, s[4:5]
	v_add_co_u32_e64 v0, s[0:1], s2, v8
	v_addc_co_u32_e64 v1, s[0:1], 0, v15, s[0:1]
	v_cmp_ngt_f16_e64 s[0:1], v4, v10
	s_and_saveexec_b64 s[2:3], s[0:1]
	s_xor_b64 s[0:1], exec, s[2:3]
	s_or_saveexec_b64 s[0:1], s[0:1]
	v_mov_b32_e32 v8, v10
	s_xor_b64 exec, exec, s[0:1]
; %bb.15:
	v_mov_b32_e32 v8, v4
	v_mov_b32_e32 v3, v10
	;; [unrolled: 1-line block ×4, first 2 shown]
; %bb.16:
	s_or_b64 exec, exec, s[0:1]
	v_cndmask_b32_e32 v2, v9, v2, vcc
	v_cmp_gt_f16_e32 vcc, v2, v14
	v_cndmask_b32_e32 v9, v11, v2, vcc
	v_cndmask_b32_e32 v2, v2, v14, vcc
	v_cmp_gt_f16_e32 vcc, v5, v3
	v_cndmask_b32_e32 v4, v4, v5, vcc
	v_cndmask_b32_e32 v5, v5, v3, vcc
	v_cndmask_b32_e32 v3, v13, v3, vcc
	v_cmp_gt_f16_e32 vcc, v12, v6
	v_cndmask_b32_e32 v10, v12, v6, vcc
	;; [unrolled: 4-line block ×3, first 2 shown]
	v_cndmask_b32_e32 v8, v9, v3, vcc
	v_cmp_gt_f16_e32 vcc, v4, v6
	v_cndmask_b32_e32 v9, v10, v4, vcc
	v_cndmask_b32_e32 v3, v4, v6, vcc
	s_mov_b32 s0, 0x5040100
	v_perm_b32 v3, v3, v5, s0
	v_perm_b32 v2, v8, v2, s0
	;; [unrolled: 1-line block ×3, first 2 shown]
	global_store_dwordx3 v[0:1], v[2:4], off
	s_endpgm
	.section	.rodata,"a",@progbits
	.p2align	6, 0x0
	.amdhsa_kernel _Z9sort_keysILj256ELj6E6__halfN10test_utils4lessEEvPT1_T2_
		.amdhsa_group_segment_fixed_size 0
		.amdhsa_private_segment_fixed_size 0
		.amdhsa_kernarg_size 12
		.amdhsa_user_sgpr_count 6
		.amdhsa_user_sgpr_private_segment_buffer 1
		.amdhsa_user_sgpr_dispatch_ptr 0
		.amdhsa_user_sgpr_queue_ptr 0
		.amdhsa_user_sgpr_kernarg_segment_ptr 1
		.amdhsa_user_sgpr_dispatch_id 0
		.amdhsa_user_sgpr_flat_scratch_init 0
		.amdhsa_user_sgpr_kernarg_preload_length 0
		.amdhsa_user_sgpr_kernarg_preload_offset 0
		.amdhsa_user_sgpr_private_segment_size 0
		.amdhsa_uses_dynamic_stack 0
		.amdhsa_system_sgpr_private_segment_wavefront_offset 0
		.amdhsa_system_sgpr_workgroup_id_x 1
		.amdhsa_system_sgpr_workgroup_id_y 0
		.amdhsa_system_sgpr_workgroup_id_z 0
		.amdhsa_system_sgpr_workgroup_info 0
		.amdhsa_system_vgpr_workitem_id 0
		.amdhsa_next_free_vgpr 16
		.amdhsa_next_free_sgpr 7
		.amdhsa_accum_offset 16
		.amdhsa_reserve_vcc 1
		.amdhsa_reserve_flat_scratch 0
		.amdhsa_float_round_mode_32 0
		.amdhsa_float_round_mode_16_64 0
		.amdhsa_float_denorm_mode_32 3
		.amdhsa_float_denorm_mode_16_64 3
		.amdhsa_dx10_clamp 1
		.amdhsa_ieee_mode 1
		.amdhsa_fp16_overflow 0
		.amdhsa_tg_split 0
		.amdhsa_exception_fp_ieee_invalid_op 0
		.amdhsa_exception_fp_denorm_src 0
		.amdhsa_exception_fp_ieee_div_zero 0
		.amdhsa_exception_fp_ieee_overflow 0
		.amdhsa_exception_fp_ieee_underflow 0
		.amdhsa_exception_fp_ieee_inexact 0
		.amdhsa_exception_int_div_zero 0
	.end_amdhsa_kernel
	.section	.text._Z9sort_keysILj256ELj6E6__halfN10test_utils4lessEEvPT1_T2_,"axG",@progbits,_Z9sort_keysILj256ELj6E6__halfN10test_utils4lessEEvPT1_T2_,comdat
.Lfunc_end1:
	.size	_Z9sort_keysILj256ELj6E6__halfN10test_utils4lessEEvPT1_T2_, .Lfunc_end1-_Z9sort_keysILj256ELj6E6__halfN10test_utils4lessEEvPT1_T2_
                                        ; -- End function
	.section	.AMDGPU.csdata,"",@progbits
; Kernel info:
; codeLenInByte = 548
; NumSgprs: 11
; NumVgprs: 16
; NumAgprs: 0
; TotalNumVgprs: 16
; ScratchSize: 0
; MemoryBound: 0
; FloatMode: 240
; IeeeMode: 1
; LDSByteSize: 0 bytes/workgroup (compile time only)
; SGPRBlocks: 1
; VGPRBlocks: 1
; NumSGPRsForWavesPerEU: 11
; NumVGPRsForWavesPerEU: 16
; AccumOffset: 16
; Occupancy: 8
; WaveLimiterHint : 0
; COMPUTE_PGM_RSRC2:SCRATCH_EN: 0
; COMPUTE_PGM_RSRC2:USER_SGPR: 6
; COMPUTE_PGM_RSRC2:TRAP_HANDLER: 0
; COMPUTE_PGM_RSRC2:TGID_X_EN: 1
; COMPUTE_PGM_RSRC2:TGID_Y_EN: 0
; COMPUTE_PGM_RSRC2:TGID_Z_EN: 0
; COMPUTE_PGM_RSRC2:TIDIG_COMP_CNT: 0
; COMPUTE_PGM_RSRC3_GFX90A:ACCUM_OFFSET: 3
; COMPUTE_PGM_RSRC3_GFX90A:TG_SPLIT: 0
	.section	.text._Z9sort_keysILj256ELj4EN10test_utils16custom_test_typeIiEENS0_4lessEEvPT1_T2_,"axG",@progbits,_Z9sort_keysILj256ELj4EN10test_utils16custom_test_typeIiEENS0_4lessEEvPT1_T2_,comdat
	.protected	_Z9sort_keysILj256ELj4EN10test_utils16custom_test_typeIiEENS0_4lessEEvPT1_T2_ ; -- Begin function _Z9sort_keysILj256ELj4EN10test_utils16custom_test_typeIiEENS0_4lessEEvPT1_T2_
	.globl	_Z9sort_keysILj256ELj4EN10test_utils16custom_test_typeIiEENS0_4lessEEvPT1_T2_
	.p2align	8
	.type	_Z9sort_keysILj256ELj4EN10test_utils16custom_test_typeIiEENS0_4lessEEvPT1_T2_,@function
_Z9sort_keysILj256ELj4EN10test_utils16custom_test_typeIiEENS0_4lessEEvPT1_T2_: ; @_Z9sort_keysILj256ELj4EN10test_utils16custom_test_typeIiEENS0_4lessEEvPT1_T2_
; %bb.0:
	s_load_dwordx2 s[0:1], s[4:5], 0x0
	s_lshl_b32 s2, s6, 10
	s_mov_b32 s3, 0
	s_lshl_b64 s[2:3], s[2:3], 3
	v_lshlrev_b32_e32 v18, 5, v0
	s_waitcnt lgkmcnt(0)
	s_add_u32 s6, s0, s2
	s_addc_u32 s7, s1, s3
	global_load_dwordx4 v[0:3], v18, s[6:7]
	global_load_dwordx4 v[4:7], v18, s[6:7] offset:16
	s_waitcnt vmcnt(1)
	v_cmp_eq_u32_e64 s[0:1], v2, v0
	v_cmp_lt_i32_e64 s[2:3], v3, v1
	v_cmp_lt_i32_e32 vcc, v2, v0
	s_and_b64 s[0:1], s[0:1], s[2:3]
	v_mov_b32_e32 v11, v3
	v_mov_b32_e32 v10, v2
	v_pk_mov_b32 v[8:9], v[2:3], v[2:3] op_sel:[0,1]
	s_or_b64 s[2:3], vcc, s[0:1]
	v_mov_b32_e32 v20, v1
	s_and_saveexec_b64 s[0:1], s[2:3]
; %bb.1:
	v_pk_mov_b32 v[12:13], v[0:1], v[0:1] op_sel:[0,1]
	v_mov_b32_e32 v11, v1
	v_mov_b32_e32 v10, v0
	v_pk_mov_b32 v[8:9], v[0:1], v[0:1] op_sel:[0,1]
	v_pk_mov_b32 v[0:1], v[2:3], v[2:3] op_sel:[0,1]
	v_mov_b32_e32 v20, v3
	v_pk_mov_b32 v[2:3], v[12:13], v[12:13] op_sel:[0,1]
; %bb.2:
	s_or_b64 exec, exec, s[0:1]
	s_waitcnt vmcnt(0)
	v_cmp_eq_u32_e64 s[0:1], v6, v4
	v_cmp_lt_i32_e64 s[2:3], v7, v5
	v_cmp_lt_i32_e32 vcc, v6, v4
	s_and_b64 s[0:1], s[0:1], s[2:3]
	s_or_b64 vcc, vcc, s[0:1]
	v_cndmask_b32_e32 v13, v5, v7, vcc
	v_cndmask_b32_e32 v12, v4, v6, vcc
	v_cmp_ne_u32_e64 s[2:3], v12, v10
	v_cmp_ge_i32_e64 s[4:5], v13, v11
	v_cmp_ge_i32_e64 s[0:1], v12, v10
	s_or_b64 s[2:3], s[2:3], s[4:5]
	s_and_b64 s[0:1], s[0:1], s[2:3]
                                        ; implicit-def: $vgpr14_vgpr15
                                        ; implicit-def: $vgpr16_vgpr17
	s_and_saveexec_b64 s[2:3], s[0:1]
	s_xor_b64 s[0:1], exec, s[2:3]
; %bb.3:
	v_pk_mov_b32 v[14:15], v[12:13], v[12:13] op_sel:[0,1]
	v_pk_mov_b32 v[16:17], v[10:11], v[10:11] op_sel:[0,1]
; %bb.4:
	s_or_saveexec_b64 s[0:1], s[0:1]
	v_mov_b32_e32 v19, s7
	s_xor_b64 exec, exec, s[0:1]
; %bb.5:
	v_mov_b32_e32 v21, v8
	v_mov_b32_e32 v22, v9
	;; [unrolled: 1-line block ×4, first 2 shown]
	v_pk_mov_b32 v[16:17], v[12:13], v[12:13] op_sel:[0,1]
	v_mov_b32_e32 v11, v13
	v_mov_b32_e32 v10, v12
	v_pk_mov_b32 v[14:15], v[8:9], v[8:9] op_sel:[0,1]
	v_pk_mov_b32 v[8:9], v[12:13], v[12:13] op_sel:[0,1]
	v_mov_b32_e32 v13, v22
	v_mov_b32_e32 v12, v21
; %bb.6:
	s_or_b64 exec, exec, s[0:1]
	v_add_co_u32_e64 v18, s[0:1], s6, v18
	v_addc_co_u32_e64 v19, s[0:1], 0, v19, s[0:1]
	v_cndmask_b32_e32 v5, v7, v5, vcc
	v_cndmask_b32_e32 v4, v6, v4, vcc
	v_cmp_ne_u32_e64 s[0:1], v4, v12
	v_cmp_ge_i32_e64 s[2:3], v5, v13
	v_cmp_ge_i32_e32 vcc, v4, v12
	s_or_b64 s[0:1], s[0:1], s[2:3]
	s_and_b64 s[0:1], vcc, s[0:1]
                                        ; implicit-def: $vgpr6_vgpr7
	s_and_saveexec_b64 s[2:3], s[0:1]
	s_xor_b64 s[0:1], exec, s[2:3]
; %bb.7:
	v_pk_mov_b32 v[6:7], v[12:13], v[12:13] op_sel:[0,1]
; %bb.8:
	s_andn2_saveexec_b64 s[0:1], s[0:1]
; %bb.9:
	v_pk_mov_b32 v[22:23], v[14:15], v[14:15] op_sel:[0,1]
	v_pk_mov_b32 v[6:7], v[4:5], v[4:5] op_sel:[0,1]
	;; [unrolled: 1-line block ×3, first 2 shown]
	v_mov_b32_e32 v13, v5
	v_mov_b32_e32 v12, v4
	v_pk_mov_b32 v[4:5], v[22:23], v[22:23] op_sel:[0,1]
; %bb.10:
	s_or_b64 exec, exec, s[0:1]
	v_cmp_eq_u32_e64 s[0:1], v10, v0
	v_cmp_lt_i32_e64 s[2:3], v11, v20
	v_cmp_lt_i32_e32 vcc, v10, v0
	s_and_b64 s[0:1], s[0:1], s[2:3]
	s_or_b64 vcc, vcc, s[0:1]
	v_cndmask_b32_e32 v10, v8, v0, vcc
	v_cndmask_b32_e32 v11, v9, v1, vcc
	;; [unrolled: 1-line block ×6, first 2 shown]
	v_cmp_eq_u32_e64 s[0:1], v12, v0
	v_cmp_lt_i32_e64 s[2:3], v13, v1
	v_cmp_lt_i32_e32 vcc, v12, v0
	s_and_b64 s[0:1], s[0:1], s[2:3]
	s_or_b64 vcc, vcc, s[0:1]
	v_cndmask_b32_e32 v3, v15, v11, vcc
	v_cndmask_b32_e32 v2, v14, v10, vcc
	;; [unrolled: 1-line block ×4, first 2 shown]
	global_store_dwordx4 v[18:19], v[8:11], off
	global_store_dwordx4 v[18:19], v[2:5], off offset:16
	s_endpgm
	.section	.rodata,"a",@progbits
	.p2align	6, 0x0
	.amdhsa_kernel _Z9sort_keysILj256ELj4EN10test_utils16custom_test_typeIiEENS0_4lessEEvPT1_T2_
		.amdhsa_group_segment_fixed_size 0
		.amdhsa_private_segment_fixed_size 0
		.amdhsa_kernarg_size 12
		.amdhsa_user_sgpr_count 6
		.amdhsa_user_sgpr_private_segment_buffer 1
		.amdhsa_user_sgpr_dispatch_ptr 0
		.amdhsa_user_sgpr_queue_ptr 0
		.amdhsa_user_sgpr_kernarg_segment_ptr 1
		.amdhsa_user_sgpr_dispatch_id 0
		.amdhsa_user_sgpr_flat_scratch_init 0
		.amdhsa_user_sgpr_kernarg_preload_length 0
		.amdhsa_user_sgpr_kernarg_preload_offset 0
		.amdhsa_user_sgpr_private_segment_size 0
		.amdhsa_uses_dynamic_stack 0
		.amdhsa_system_sgpr_private_segment_wavefront_offset 0
		.amdhsa_system_sgpr_workgroup_id_x 1
		.amdhsa_system_sgpr_workgroup_id_y 0
		.amdhsa_system_sgpr_workgroup_id_z 0
		.amdhsa_system_sgpr_workgroup_info 0
		.amdhsa_system_vgpr_workitem_id 0
		.amdhsa_next_free_vgpr 24
		.amdhsa_next_free_sgpr 8
		.amdhsa_accum_offset 24
		.amdhsa_reserve_vcc 1
		.amdhsa_reserve_flat_scratch 0
		.amdhsa_float_round_mode_32 0
		.amdhsa_float_round_mode_16_64 0
		.amdhsa_float_denorm_mode_32 3
		.amdhsa_float_denorm_mode_16_64 3
		.amdhsa_dx10_clamp 1
		.amdhsa_ieee_mode 1
		.amdhsa_fp16_overflow 0
		.amdhsa_tg_split 0
		.amdhsa_exception_fp_ieee_invalid_op 0
		.amdhsa_exception_fp_denorm_src 0
		.amdhsa_exception_fp_ieee_div_zero 0
		.amdhsa_exception_fp_ieee_overflow 0
		.amdhsa_exception_fp_ieee_underflow 0
		.amdhsa_exception_fp_ieee_inexact 0
		.amdhsa_exception_int_div_zero 0
	.end_amdhsa_kernel
	.section	.text._Z9sort_keysILj256ELj4EN10test_utils16custom_test_typeIiEENS0_4lessEEvPT1_T2_,"axG",@progbits,_Z9sort_keysILj256ELj4EN10test_utils16custom_test_typeIiEENS0_4lessEEvPT1_T2_,comdat
.Lfunc_end2:
	.size	_Z9sort_keysILj256ELj4EN10test_utils16custom_test_typeIiEENS0_4lessEEvPT1_T2_, .Lfunc_end2-_Z9sort_keysILj256ELj4EN10test_utils16custom_test_typeIiEENS0_4lessEEvPT1_T2_
                                        ; -- End function
	.section	.AMDGPU.csdata,"",@progbits
; Kernel info:
; codeLenInByte = 556
; NumSgprs: 12
; NumVgprs: 24
; NumAgprs: 0
; TotalNumVgprs: 24
; ScratchSize: 0
; MemoryBound: 0
; FloatMode: 240
; IeeeMode: 1
; LDSByteSize: 0 bytes/workgroup (compile time only)
; SGPRBlocks: 1
; VGPRBlocks: 2
; NumSGPRsForWavesPerEU: 12
; NumVGPRsForWavesPerEU: 24
; AccumOffset: 24
; Occupancy: 8
; WaveLimiterHint : 0
; COMPUTE_PGM_RSRC2:SCRATCH_EN: 0
; COMPUTE_PGM_RSRC2:USER_SGPR: 6
; COMPUTE_PGM_RSRC2:TRAP_HANDLER: 0
; COMPUTE_PGM_RSRC2:TGID_X_EN: 1
; COMPUTE_PGM_RSRC2:TGID_Y_EN: 0
; COMPUTE_PGM_RSRC2:TGID_Z_EN: 0
; COMPUTE_PGM_RSRC2:TIDIG_COMP_CNT: 0
; COMPUTE_PGM_RSRC3_GFX90A:ACCUM_OFFSET: 5
; COMPUTE_PGM_RSRC3_GFX90A:TG_SPLIT: 0
	.section	.text._Z9sort_keysILj256ELj11EdN10test_utils4lessEEvPT1_T2_,"axG",@progbits,_Z9sort_keysILj256ELj11EdN10test_utils4lessEEvPT1_T2_,comdat
	.protected	_Z9sort_keysILj256ELj11EdN10test_utils4lessEEvPT1_T2_ ; -- Begin function _Z9sort_keysILj256ELj11EdN10test_utils4lessEEvPT1_T2_
	.globl	_Z9sort_keysILj256ELj11EdN10test_utils4lessEEvPT1_T2_
	.p2align	8
	.type	_Z9sort_keysILj256ELj11EdN10test_utils4lessEEvPT1_T2_,@function
_Z9sort_keysILj256ELj11EdN10test_utils4lessEEvPT1_T2_: ; @_Z9sort_keysILj256ELj11EdN10test_utils4lessEEvPT1_T2_
; %bb.0:
	s_load_dwordx2 s[0:1], s[4:5], 0x0
	s_mul_i32 s2, s6, 0xb00
	s_mov_b32 s3, 0
	s_lshl_b64 s[2:3], s[2:3], 3
	v_mul_u32_u24_e32 v0, 11, v0
	s_waitcnt lgkmcnt(0)
	s_add_u32 s8, s0, s2
	s_addc_u32 s9, s1, s3
	v_lshlrev_b32_e32 v0, 3, v0
	global_load_dwordx4 v[2:5], v0, s[8:9]
	global_load_dwordx4 v[6:9], v0, s[8:9] offset:16
	global_load_dwordx4 v[10:13], v0, s[8:9] offset:32
	;; [unrolled: 1-line block ×4, first 2 shown]
	global_load_dwordx2 v[22:23], v0, s[8:9] offset:80
	s_waitcnt vmcnt(5)
	v_cmp_lt_f64_e32 vcc, v[4:5], v[2:3]
	s_waitcnt vmcnt(4)
	v_cmp_lt_f64_e64 s[0:1], v[8:9], v[6:7]
	s_waitcnt vmcnt(3)
	v_cmp_lt_f64_e64 s[2:3], v[12:13], v[10:11]
	v_cndmask_b32_e32 v25, v3, v5, vcc
	v_cndmask_b32_e64 v27, v9, v7, s[0:1]
	s_waitcnt vmcnt(2)
	v_cmp_lt_f64_e64 s[4:5], v[16:17], v[14:15]
	v_cndmask_b32_e32 v24, v2, v4, vcc
	v_cndmask_b32_e32 v3, v5, v3, vcc
	;; [unrolled: 1-line block ×3, first 2 shown]
	v_cndmask_b32_e64 v26, v8, v6, s[0:1]
	v_cndmask_b32_e64 v5, v7, v9, s[0:1]
	;; [unrolled: 1-line block ×6, first 2 shown]
	s_waitcnt vmcnt(1)
	v_cmp_lt_f64_e64 s[6:7], v[20:21], v[18:19]
	v_cndmask_b32_e64 v28, v12, v10, s[2:3]
	v_cndmask_b32_e64 v9, v15, v17, s[4:5]
	;; [unrolled: 1-line block ×3, first 2 shown]
	v_cmp_lt_f64_e32 vcc, v[4:5], v[2:3]
	v_cmp_lt_f64_e64 s[0:1], v[6:7], v[26:27]
	v_cndmask_b32_e64 v31, v17, v15, s[4:5]
	v_cndmask_b32_e64 v33, v21, v19, s[6:7]
	;; [unrolled: 1-line block ×6, first 2 shown]
	v_cndmask_b32_e32 v13, v5, v3, vcc
	v_cmp_lt_f64_e64 s[2:3], v[8:9], v[28:29]
	v_cndmask_b32_e32 v12, v4, v2, vcc
	v_cndmask_b32_e32 v3, v3, v5, vcc
	;; [unrolled: 1-line block ×3, first 2 shown]
	v_cndmask_b32_e64 v5, v27, v7, s[0:1]
	v_cndmask_b32_e64 v4, v26, v6, s[0:1]
	;; [unrolled: 1-line block ×3, first 2 shown]
	v_cmp_lt_f64_e64 s[4:5], v[10:11], v[30:31]
	s_waitcnt vmcnt(0)
	v_cmp_lt_f64_e64 s[6:7], v[22:23], v[32:33]
	v_cndmask_b32_e64 v14, v6, v26, s[0:1]
	v_cndmask_b32_e64 v7, v29, v9, s[2:3]
	;; [unrolled: 1-line block ×3, first 2 shown]
	v_cmp_lt_f64_e32 vcc, v[2:3], v[24:25]
	v_cmp_lt_f64_e64 s[0:1], v[4:5], v[12:13]
	v_cndmask_b32_e64 v17, v9, v29, s[2:3]
	v_cndmask_b32_e64 v19, v11, v31, s[4:5]
	;; [unrolled: 1-line block ×10, first 2 shown]
	v_cndmask_b32_e32 v23, v25, v3, vcc
	v_cndmask_b32_e64 v27, v5, v13, s[0:1]
	v_cmp_lt_f64_e64 s[2:3], v[6:7], v[14:15]
	v_cndmask_b32_e32 v22, v24, v2, vcc
	v_cndmask_b32_e32 v3, v3, v25, vcc
	;; [unrolled: 1-line block ×3, first 2 shown]
	v_cndmask_b32_e64 v26, v4, v12, s[0:1]
	v_cndmask_b32_e64 v5, v13, v5, s[0:1]
	;; [unrolled: 1-line block ×4, first 2 shown]
	v_cmp_lt_f64_e64 s[4:5], v[8:9], v[16:17]
	v_cndmask_b32_e64 v28, v6, v14, s[2:3]
	v_cndmask_b32_e64 v7, v15, v7, s[2:3]
	;; [unrolled: 1-line block ×3, first 2 shown]
	v_cmp_lt_f64_e32 vcc, v[4:5], v[2:3]
	v_cndmask_b32_e64 v31, v9, v17, s[4:5]
	v_cmp_lt_f64_e64 s[6:7], v[10:11], v[18:19]
	v_cndmask_b32_e64 v30, v8, v16, s[4:5]
	v_cndmask_b32_e64 v9, v17, v9, s[4:5]
	;; [unrolled: 1-line block ×3, first 2 shown]
	v_cndmask_b32_e32 v13, v5, v3, vcc
	v_cndmask_b32_e32 v12, v4, v2, vcc
	;; [unrolled: 1-line block ×4, first 2 shown]
	v_cmp_lt_f64_e32 vcc, v[6:7], v[26:27]
	v_cndmask_b32_e64 v33, v11, v19, s[6:7]
	v_cndmask_b32_e64 v32, v10, v18, s[6:7]
	;; [unrolled: 1-line block ×4, first 2 shown]
	v_cndmask_b32_e32 v5, v7, v27, vcc
	v_cndmask_b32_e32 v4, v6, v26, vcc
	v_cndmask_b32_e32 v7, v27, v7, vcc
	v_cndmask_b32_e32 v6, v26, v6, vcc
	v_cmp_lt_f64_e32 vcc, v[8:9], v[28:29]
	v_cndmask_b32_e32 v15, v9, v29, vcc
	v_cndmask_b32_e32 v14, v8, v28, vcc
	v_cndmask_b32_e32 v9, v29, v9, vcc
	v_cndmask_b32_e32 v8, v28, v8, vcc
	v_cmp_lt_f64_e32 vcc, v[10:11], v[30:31]
	v_cndmask_b32_e32 v17, v11, v31, vcc
	v_cndmask_b32_e32 v16, v10, v30, vcc
	v_cndmask_b32_e32 v11, v31, v11, vcc
	v_cndmask_b32_e32 v10, v30, v10, vcc
	v_cmp_lt_f64_e32 vcc, v[20:21], v[32:33]
	v_cndmask_b32_e32 v19, v21, v33, vcc
	v_cndmask_b32_e32 v18, v20, v32, vcc
	v_cndmask_b32_e32 v21, v33, v21, vcc
	v_cndmask_b32_e32 v20, v32, v20, vcc
	v_cmp_lt_f64_e32 vcc, v[2:3], v[22:23]
	v_cndmask_b32_e32 v25, v23, v3, vcc
	v_cndmask_b32_e32 v24, v22, v2, vcc
	v_cndmask_b32_e32 v3, v3, v23, vcc
	v_cndmask_b32_e32 v2, v2, v22, vcc
	v_cmp_lt_f64_e32 vcc, v[6:7], v[12:13]
	v_cndmask_b32_e32 v23, v7, v13, vcc
	v_cndmask_b32_e32 v22, v6, v12, vcc
	v_cndmask_b32_e32 v7, v13, v7, vcc
	v_cndmask_b32_e32 v6, v12, v6, vcc
	v_cmp_lt_f64_e32 vcc, v[8:9], v[4:5]
	v_cndmask_b32_e32 v13, v9, v5, vcc
	v_cndmask_b32_e32 v12, v8, v4, vcc
	v_cndmask_b32_e32 v5, v5, v9, vcc
	v_cndmask_b32_e32 v4, v4, v8, vcc
	v_cmp_lt_f64_e32 vcc, v[10:11], v[14:15]
	v_cndmask_b32_e32 v9, v11, v15, vcc
	v_cndmask_b32_e32 v8, v10, v14, vcc
	v_cndmask_b32_e32 v11, v15, v11, vcc
	v_cndmask_b32_e32 v10, v14, v10, vcc
	v_cmp_lt_f64_e32 vcc, v[20:21], v[16:17]
	v_cndmask_b32_e32 v15, v21, v17, vcc
	v_cndmask_b32_e32 v14, v20, v16, vcc
	v_cndmask_b32_e32 v17, v17, v21, vcc
	v_cndmask_b32_e32 v16, v16, v20, vcc
	v_cmp_lt_f64_e32 vcc, v[6:7], v[2:3]
	v_cndmask_b32_e32 v21, v7, v3, vcc
	v_cndmask_b32_e32 v20, v6, v2, vcc
	v_cndmask_b32_e32 v3, v3, v7, vcc
	v_cndmask_b32_e32 v2, v2, v6, vcc
	v_cmp_lt_f64_e32 vcc, v[4:5], v[22:23]
	v_cndmask_b32_e32 v7, v5, v23, vcc
	v_cndmask_b32_e32 v6, v4, v22, vcc
	v_cndmask_b32_e32 v5, v23, v5, vcc
	v_cndmask_b32_e32 v4, v22, v4, vcc
	v_cmp_lt_f64_e32 vcc, v[10:11], v[12:13]
	v_cndmask_b32_e32 v23, v11, v13, vcc
	v_cndmask_b32_e32 v22, v10, v12, vcc
	v_cndmask_b32_e32 v11, v13, v11, vcc
	v_cndmask_b32_e32 v10, v12, v10, vcc
	v_cmp_lt_f64_e32 vcc, v[16:17], v[8:9]
	v_cndmask_b32_e32 v13, v17, v9, vcc
	v_cndmask_b32_e32 v12, v16, v8, vcc
	v_cndmask_b32_e32 v9, v9, v17, vcc
	v_cndmask_b32_e32 v8, v8, v16, vcc
	v_cmp_lt_f64_e32 vcc, v[18:19], v[14:15]
	v_cndmask_b32_e32 v17, v19, v15, vcc
	v_cndmask_b32_e32 v16, v18, v14, vcc
	v_cndmask_b32_e32 v15, v15, v19, vcc
	v_cndmask_b32_e32 v14, v14, v18, vcc
	v_cmp_lt_f64_e32 vcc, v[2:3], v[24:25]
	v_cndmask_b32_e32 v19, v25, v3, vcc
	v_cndmask_b32_e32 v18, v24, v2, vcc
	v_cndmask_b32_e32 v3, v3, v25, vcc
	v_cndmask_b32_e32 v2, v2, v24, vcc
	v_cmp_lt_f64_e32 vcc, v[4:5], v[20:21]
	v_cndmask_b32_e32 v25, v5, v21, vcc
	v_cndmask_b32_e32 v24, v4, v20, vcc
	v_cndmask_b32_e32 v5, v21, v5, vcc
	v_cndmask_b32_e32 v4, v20, v4, vcc
	v_cmp_lt_f64_e32 vcc, v[10:11], v[6:7]
	v_cndmask_b32_e32 v21, v11, v7, vcc
	v_cndmask_b32_e32 v20, v10, v6, vcc
	v_cndmask_b32_e32 v7, v7, v11, vcc
	v_cndmask_b32_e32 v6, v6, v10, vcc
	v_cmp_lt_f64_e32 vcc, v[8:9], v[22:23]
	v_cndmask_b32_e32 v11, v9, v23, vcc
	v_cndmask_b32_e32 v10, v8, v22, vcc
	v_cndmask_b32_e32 v9, v23, v9, vcc
	v_cndmask_b32_e32 v8, v22, v8, vcc
	v_cmp_lt_f64_e32 vcc, v[14:15], v[12:13]
	v_cndmask_b32_e32 v23, v15, v13, vcc
	v_cndmask_b32_e32 v22, v14, v12, vcc
	v_cndmask_b32_e32 v13, v13, v15, vcc
	v_cndmask_b32_e32 v12, v12, v14, vcc
	v_cmp_lt_f64_e32 vcc, v[4:5], v[2:3]
	v_cndmask_b32_e32 v15, v5, v3, vcc
	v_cndmask_b32_e32 v14, v4, v2, vcc
	v_cndmask_b32_e32 v3, v3, v5, vcc
	v_cndmask_b32_e32 v2, v2, v4, vcc
	v_cmp_lt_f64_e32 vcc, v[6:7], v[24:25]
	v_cndmask_b32_e32 v5, v7, v25, vcc
	v_cndmask_b32_e32 v4, v6, v24, vcc
	v_cndmask_b32_e32 v7, v25, v7, vcc
	v_cndmask_b32_e32 v6, v24, v6, vcc
	v_cmp_lt_f64_e32 vcc, v[8:9], v[20:21]
	v_cndmask_b32_e32 v25, v9, v21, vcc
	v_cndmask_b32_e32 v24, v8, v20, vcc
	v_cndmask_b32_e32 v9, v21, v9, vcc
	v_cndmask_b32_e32 v8, v20, v8, vcc
	v_cmp_lt_f64_e32 vcc, v[12:13], v[10:11]
	v_cndmask_b32_e32 v21, v13, v11, vcc
	v_cndmask_b32_e32 v20, v12, v10, vcc
	v_cndmask_b32_e32 v11, v11, v13, vcc
	v_cndmask_b32_e32 v10, v10, v12, vcc
	v_cmp_lt_f64_e32 vcc, v[16:17], v[22:23]
	v_cndmask_b32_e32 v13, v17, v23, vcc
	v_cndmask_b32_e32 v12, v16, v22, vcc
	v_cndmask_b32_e32 v17, v23, v17, vcc
	v_cndmask_b32_e32 v16, v22, v16, vcc
	v_cmp_lt_f64_e32 vcc, v[2:3], v[18:19]
	v_cndmask_b32_e32 v23, v19, v3, vcc
	v_cndmask_b32_e32 v22, v18, v2, vcc
	v_cndmask_b32_e32 v3, v3, v19, vcc
	v_cndmask_b32_e32 v2, v2, v18, vcc
	v_cmp_lt_f64_e32 vcc, v[6:7], v[14:15]
	v_cndmask_b32_e32 v19, v7, v15, vcc
	v_cndmask_b32_e32 v18, v6, v14, vcc
	v_cndmask_b32_e32 v7, v15, v7, vcc
	v_cndmask_b32_e32 v6, v14, v6, vcc
	v_cmp_lt_f64_e32 vcc, v[8:9], v[4:5]
	v_cndmask_b32_e32 v15, v9, v5, vcc
	v_cndmask_b32_e32 v14, v8, v4, vcc
	v_cndmask_b32_e32 v5, v5, v9, vcc
	v_cndmask_b32_e32 v4, v4, v8, vcc
	v_cmp_lt_f64_e32 vcc, v[10:11], v[24:25]
	v_cndmask_b32_e32 v9, v11, v25, vcc
	v_cndmask_b32_e32 v8, v10, v24, vcc
	v_cndmask_b32_e32 v11, v25, v11, vcc
	v_cndmask_b32_e32 v10, v24, v10, vcc
	v_cmp_lt_f64_e32 vcc, v[16:17], v[20:21]
	v_cndmask_b32_e32 v25, v17, v21, vcc
	v_cndmask_b32_e32 v24, v16, v20, vcc
	v_cndmask_b32_e32 v17, v21, v17, vcc
	v_cndmask_b32_e32 v16, v20, v16, vcc
	v_cmp_lt_f64_e32 vcc, v[6:7], v[2:3]
	v_cndmask_b32_e32 v21, v7, v3, vcc
	v_cndmask_b32_e32 v20, v6, v2, vcc
	v_cndmask_b32_e32 v3, v3, v7, vcc
	v_cndmask_b32_e32 v2, v2, v6, vcc
	v_cmp_lt_f64_e32 vcc, v[4:5], v[18:19]
	v_cndmask_b32_e32 v27, v5, v19, vcc
	v_cndmask_b32_e32 v26, v4, v18, vcc
	v_cndmask_b32_e32 v7, v19, v5, vcc
	v_cndmask_b32_e32 v6, v18, v4, vcc
	v_cmp_lt_f64_e32 vcc, v[10:11], v[14:15]
	v_cndmask_b32_e32 v19, v11, v15, vcc
	v_cndmask_b32_e32 v18, v10, v14, vcc
	v_cndmask_b32_e32 v11, v15, v11, vcc
	v_cndmask_b32_e32 v10, v14, v10, vcc
	v_cmp_lt_f64_e32 vcc, v[16:17], v[8:9]
	v_cndmask_b32_e32 v29, v17, v9, vcc
	v_cndmask_b32_e32 v28, v16, v8, vcc
	v_cndmask_b32_e32 v15, v9, v17, vcc
	v_cndmask_b32_e32 v14, v8, v16, vcc
	v_cmp_lt_f64_e32 vcc, v[12:13], v[24:25]
	v_cndmask_b32_e32 v31, v13, v25, vcc
	v_cndmask_b32_e32 v30, v12, v24, vcc
	v_cndmask_b32_e32 v25, v25, v13, vcc
	v_cndmask_b32_e32 v24, v24, v12, vcc
	v_cmp_lt_f64_e32 vcc, v[2:3], v[22:23]
	v_cndmask_b32_e32 v5, v3, v23, vcc
	v_cndmask_b32_e32 v4, v2, v22, vcc
	v_cndmask_b32_e32 v3, v23, v3, vcc
	v_cndmask_b32_e32 v2, v22, v2, vcc
	v_cmp_lt_f64_e32 vcc, v[6:7], v[20:21]
	v_cndmask_b32_e32 v9, v7, v21, vcc
	v_cndmask_b32_e32 v8, v6, v20, vcc
	v_cndmask_b32_e32 v7, v21, v7, vcc
	v_cndmask_b32_e32 v6, v20, v6, vcc
	v_cmp_lt_f64_e32 vcc, v[10:11], v[26:27]
	v_cndmask_b32_e32 v13, v11, v27, vcc
	v_cndmask_b32_e32 v12, v10, v26, vcc
	v_cndmask_b32_e32 v11, v27, v11, vcc
	v_cndmask_b32_e32 v10, v26, v10, vcc
	v_cmp_lt_f64_e32 vcc, v[14:15], v[18:19]
	v_cndmask_b32_e32 v17, v15, v19, vcc
	v_cndmask_b32_e32 v16, v14, v18, vcc
	v_cndmask_b32_e32 v15, v19, v15, vcc
	v_cndmask_b32_e32 v14, v18, v14, vcc
	v_cmp_lt_f64_e32 vcc, v[24:25], v[28:29]
	v_cndmask_b32_e32 v21, v25, v29, vcc
	v_cndmask_b32_e32 v20, v24, v28, vcc
	;; [unrolled: 1-line block ×4, first 2 shown]
	global_store_dwordx4 v0, v[2:5], s[8:9]
	global_store_dwordx4 v0, v[6:9], s[8:9] offset:16
	global_store_dwordx4 v0, v[10:13], s[8:9] offset:32
	;; [unrolled: 1-line block ×4, first 2 shown]
	global_store_dwordx2 v0, v[30:31], s[8:9] offset:80
	s_endpgm
	.section	.rodata,"a",@progbits
	.p2align	6, 0x0
	.amdhsa_kernel _Z9sort_keysILj256ELj11EdN10test_utils4lessEEvPT1_T2_
		.amdhsa_group_segment_fixed_size 0
		.amdhsa_private_segment_fixed_size 0
		.amdhsa_kernarg_size 12
		.amdhsa_user_sgpr_count 6
		.amdhsa_user_sgpr_private_segment_buffer 1
		.amdhsa_user_sgpr_dispatch_ptr 0
		.amdhsa_user_sgpr_queue_ptr 0
		.amdhsa_user_sgpr_kernarg_segment_ptr 1
		.amdhsa_user_sgpr_dispatch_id 0
		.amdhsa_user_sgpr_flat_scratch_init 0
		.amdhsa_user_sgpr_kernarg_preload_length 0
		.amdhsa_user_sgpr_kernarg_preload_offset 0
		.amdhsa_user_sgpr_private_segment_size 0
		.amdhsa_uses_dynamic_stack 0
		.amdhsa_system_sgpr_private_segment_wavefront_offset 0
		.amdhsa_system_sgpr_workgroup_id_x 1
		.amdhsa_system_sgpr_workgroup_id_y 0
		.amdhsa_system_sgpr_workgroup_id_z 0
		.amdhsa_system_sgpr_workgroup_info 0
		.amdhsa_system_vgpr_workitem_id 0
		.amdhsa_next_free_vgpr 34
		.amdhsa_next_free_sgpr 10
		.amdhsa_accum_offset 36
		.amdhsa_reserve_vcc 1
		.amdhsa_reserve_flat_scratch 0
		.amdhsa_float_round_mode_32 0
		.amdhsa_float_round_mode_16_64 0
		.amdhsa_float_denorm_mode_32 3
		.amdhsa_float_denorm_mode_16_64 3
		.amdhsa_dx10_clamp 1
		.amdhsa_ieee_mode 1
		.amdhsa_fp16_overflow 0
		.amdhsa_tg_split 0
		.amdhsa_exception_fp_ieee_invalid_op 0
		.amdhsa_exception_fp_denorm_src 0
		.amdhsa_exception_fp_ieee_div_zero 0
		.amdhsa_exception_fp_ieee_overflow 0
		.amdhsa_exception_fp_ieee_underflow 0
		.amdhsa_exception_fp_ieee_inexact 0
		.amdhsa_exception_int_div_zero 0
	.end_amdhsa_kernel
	.section	.text._Z9sort_keysILj256ELj11EdN10test_utils4lessEEvPT1_T2_,"axG",@progbits,_Z9sort_keysILj256ELj11EdN10test_utils4lessEEvPT1_T2_,comdat
.Lfunc_end3:
	.size	_Z9sort_keysILj256ELj11EdN10test_utils4lessEEvPT1_T2_, .Lfunc_end3-_Z9sort_keysILj256ELj11EdN10test_utils4lessEEvPT1_T2_
                                        ; -- End function
	.section	.AMDGPU.csdata,"",@progbits
; Kernel info:
; codeLenInByte = 1508
; NumSgprs: 14
; NumVgprs: 34
; NumAgprs: 0
; TotalNumVgprs: 34
; ScratchSize: 0
; MemoryBound: 0
; FloatMode: 240
; IeeeMode: 1
; LDSByteSize: 0 bytes/workgroup (compile time only)
; SGPRBlocks: 1
; VGPRBlocks: 4
; NumSGPRsForWavesPerEU: 14
; NumVGPRsForWavesPerEU: 34
; AccumOffset: 36
; Occupancy: 8
; WaveLimiterHint : 0
; COMPUTE_PGM_RSRC2:SCRATCH_EN: 0
; COMPUTE_PGM_RSRC2:USER_SGPR: 6
; COMPUTE_PGM_RSRC2:TRAP_HANDLER: 0
; COMPUTE_PGM_RSRC2:TGID_X_EN: 1
; COMPUTE_PGM_RSRC2:TGID_Y_EN: 0
; COMPUTE_PGM_RSRC2:TGID_Z_EN: 0
; COMPUTE_PGM_RSRC2:TIDIG_COMP_CNT: 0
; COMPUTE_PGM_RSRC3_GFX90A:ACCUM_OFFSET: 8
; COMPUTE_PGM_RSRC3_GFX90A:TG_SPLIT: 0
	.section	.text._Z9sort_keysILj256ELj10EhN10test_utils4lessEEvPT1_T2_,"axG",@progbits,_Z9sort_keysILj256ELj10EhN10test_utils4lessEEvPT1_T2_,comdat
	.protected	_Z9sort_keysILj256ELj10EhN10test_utils4lessEEvPT1_T2_ ; -- Begin function _Z9sort_keysILj256ELj10EhN10test_utils4lessEEvPT1_T2_
	.globl	_Z9sort_keysILj256ELj10EhN10test_utils4lessEEvPT1_T2_
	.p2align	8
	.type	_Z9sort_keysILj256ELj10EhN10test_utils4lessEEvPT1_T2_,@function
_Z9sort_keysILj256ELj10EhN10test_utils4lessEEvPT1_T2_: ; @_Z9sort_keysILj256ELj10EhN10test_utils4lessEEvPT1_T2_
; %bb.0:
	s_load_dwordx2 s[0:1], s[4:5], 0x0
	s_mulk_i32 s6, 0xa00
	v_mul_u32_u24_e32 v0, 10, v0
	s_mov_b32 s8, 0x7060405
	s_mov_b32 s7, 0xc0c0001
	s_waitcnt lgkmcnt(0)
	s_add_u32 s0, s0, s6
	s_addc_u32 s1, s1, 0
	global_load_dwordx2 v[2:3], v0, s[0:1]
	global_load_ushort v1, v0, s[0:1] offset:8
	s_mov_b32 s6, 0x3020004
	s_movk_i32 s2, 0xff
	s_mov_b32 s9, 0x6070504
	s_mov_b32 s3, 0xffff
	s_movk_i32 s4, 0xff00
	s_mov_b32 s5, 0xffff0000
	s_waitcnt vmcnt(1)
	v_lshrrev_b32_e32 v6, 8, v3
	v_perm_b32 v5, v3, v3, s8
	s_waitcnt vmcnt(0)
	v_lshrrev_b32_e32 v7, 8, v1
	v_cmp_lt_u16_sdwa vcc, v6, v3 src0_sel:BYTE_0 src1_sel:BYTE_0
	v_lshrrev_b32_e32 v4, 8, v2
	v_perm_b32 v8, 0, v1, s7
	v_cndmask_b32_e32 v5, v3, v5, vcc
	v_cmp_lt_u16_sdwa vcc, v7, v1 src0_sel:BYTE_0 src1_sel:BYTE_0
	v_perm_b32 v9, v4, v2, s6
	v_max_u16_sdwa v12, v6, v3 dst_sel:DWORD dst_unused:UNUSED_PAD src0_sel:BYTE_0 src1_sel:BYTE_0
	v_min_u16_sdwa v3, v6, v3 dst_sel:DWORD dst_unused:UNUSED_PAD src0_sel:BYTE_0 src1_sel:BYTE_0
	v_cndmask_b32_e32 v6, v1, v8, vcc
	v_cmp_lt_u16_sdwa vcc, v4, v2 src0_sel:BYTE_0 src1_sel:BYTE_0
	v_min_u16_sdwa v10, v4, v2 dst_sel:DWORD dst_unused:UNUSED_PAD src0_sel:BYTE_0 src1_sel:BYTE_0
	v_max_u16_sdwa v11, v4, v2 dst_sel:DWORD dst_unused:UNUSED_PAD src0_sel:BYTE_0 src1_sel:BYTE_0
	v_cndmask_b32_e32 v2, v2, v9, vcc
	v_and_b32_sdwa v4, v5, s2 dst_sel:DWORD dst_unused:UNUSED_PAD src0_sel:WORD_1 src1_sel:DWORD
	v_max_u16_sdwa v8, v7, v1 dst_sel:DWORD dst_unused:UNUSED_PAD src0_sel:BYTE_0 src1_sel:BYTE_0
	v_min_u16_sdwa v1, v7, v1 dst_sel:DWORD dst_unused:UNUSED_PAD src0_sel:BYTE_0 src1_sel:BYTE_0
	v_perm_b32 v7, v5, v5, s9
	v_lshrrev_b32_e32 v16, 16, v2
	v_cmp_lt_u16_sdwa vcc, v5, v4 src0_sel:BYTE_3 src1_sel:DWORD
	v_cndmask_b32_e32 v7, v5, v7, vcc
	v_max_u16_sdwa v17, v5, v4 dst_sel:DWORD dst_unused:UNUSED_PAD src0_sel:BYTE_3 src1_sel:DWORD
	v_min_u16_sdwa v4, v5, v4 dst_sel:DWORD dst_unused:UNUSED_PAD src0_sel:BYTE_3 src1_sel:DWORD
	v_perm_b32 v5, 0, v16, s7
	v_max_u16_sdwa v18, v2, v16 dst_sel:DWORD dst_unused:UNUSED_PAD src0_sel:BYTE_3 src1_sel:BYTE_0
	v_min_u16_sdwa v19, v2, v16 dst_sel:DWORD dst_unused:UNUSED_PAD src0_sel:BYTE_3 src1_sel:BYTE_0
	v_and_b32_e32 v20, 0xffffff00, v7
	v_lshlrev_b32_e32 v5, 16, v5
	v_or_b32_e32 v20, v18, v20
	v_max_u16_e32 v27, v19, v11
	v_and_or_b32 v5, v2, s3, v5
	v_cmp_lt_u16_sdwa vcc, v2, v16 src0_sel:BYTE_3 src1_sel:BYTE_0
	v_min_u16_e32 v30, v3, v18
	v_and_b32_e32 v20, 0xffff, v20
	v_lshlrev_b16_e32 v32, 8, v27
	v_cndmask_b32_e32 v2, v2, v5, vcc
	v_lshlrev_b16_e32 v26, 8, v19
	v_and_or_b32 v5, v7, s5, v20
	v_or_b32_sdwa v20, v30, v32 dst_sel:WORD_1 dst_unused:UNUSED_PAD src0_sel:DWORD src1_sel:DWORD
	v_and_b32_sdwa v32, v2, s4 dst_sel:DWORD dst_unused:UNUSED_PAD src0_sel:WORD_1 src1_sel:DWORD
	v_or_b32_sdwa v26, v2, v26 dst_sel:DWORD dst_unused:UNUSED_PAD src0_sel:BYTE_0 src1_sel:DWORD
	v_or_b32_sdwa v32, v11, v32 dst_sel:WORD_1 dst_unused:UNUSED_PAD src0_sel:DWORD src1_sel:DWORD
	v_or_b32_sdwa v26, v26, v32 dst_sel:DWORD dst_unused:UNUSED_PAD src0_sel:WORD_0 src1_sel:DWORD
	v_cmp_lt_u16_e32 vcc, v19, v11
	v_cndmask_b32_e32 v2, v2, v26, vcc
	v_lshlrev_b16_e32 v13, 8, v3
	v_min_u16_e32 v28, v19, v11
	v_and_b32_sdwa v11, v2, s2 dst_sel:DWORD dst_unused:UNUSED_PAD src0_sel:WORD_1 src1_sel:DWORD
	v_lshlrev_b16_e32 v15, 8, v10
	v_or_b32_sdwa v11, v11, v13 dst_sel:WORD_1 dst_unused:UNUSED_PAD src0_sel:DWORD src1_sel:DWORD
	v_cmp_lt_u16_e32 vcc, v3, v18
	v_max_u16_e32 v29, v3, v18
	v_or_b32_e32 v15, v28, v15
	v_and_or_b32 v11, v2, s3, v11
	v_cndmask_b32_e32 v3, v7, v5, vcc
	v_lshlrev_b16_e32 v21, 8, v4
	v_and_b32_e32 v15, 0xffff, v15
	v_cndmask_b32_e32 v2, v2, v11, vcc
	v_and_b32_sdwa v5, v3, s4 dst_sel:DWORD dst_unused:UNUSED_PAD src0_sel:WORD_1 src1_sel:DWORD
	v_or_b32_sdwa v7, v3, v21 dst_sel:DWORD dst_unused:UNUSED_PAD src0_sel:BYTE_0 src1_sel:DWORD
	v_and_or_b32 v11, v2, s5, v15
	v_or_b32_sdwa v5, v12, v5 dst_sel:WORD_1 dst_unused:UNUSED_PAD src0_sel:DWORD src1_sel:DWORD
	v_cmp_lt_u16_e32 vcc, v19, v10
	v_cndmask_b32_e32 v2, v2, v11, vcc
	v_cndmask_b32_e32 v11, v10, v28, vcc
	;; [unrolled: 1-line block ×3, first 2 shown]
	v_or_b32_sdwa v5, v7, v5 dst_sel:DWORD dst_unused:UNUSED_PAD src0_sel:WORD_0 src1_sel:DWORD
	v_cmp_lt_u16_e32 vcc, v4, v12
	v_max_u16_e32 v24, v1, v17
	v_cndmask_b32_e32 v3, v3, v5, vcc
	v_and_b32_e32 v9, 0xffffff00, v6
	v_lshlrev_b16_e32 v14, 8, v1
	v_max_u16_e32 v22, v4, v12
	v_min_u16_e32 v23, v4, v12
	v_lshlrev_b16_e32 v31, 8, v24
	v_and_b32_sdwa v4, v3, s2 dst_sel:DWORD dst_unused:UNUSED_PAD src0_sel:WORD_1 src1_sel:DWORD
	v_or_b32_e32 v9, v17, v9
	v_or_b32_e32 v31, v8, v31
	v_lshlrev_b16_e32 v33, 8, v29
	v_and_or_b32 v7, v2, s3, v20
	v_cmp_lt_u16_e32 vcc, v30, v27
	v_or_b32_sdwa v4, v4, v14 dst_sel:WORD_1 dst_unused:UNUSED_PAD src0_sel:DWORD src1_sel:DWORD
	v_and_b32_e32 v9, 0xffff, v9
	v_and_b32_e32 v16, 0xffff, v31
	v_or_b32_e32 v31, v23, v33
	v_cndmask_b32_e32 v2, v2, v7, vcc
	v_and_or_b32 v4, v3, s3, v4
	v_cmp_lt_u16_e32 vcc, v1, v17
	v_min_u16_e32 v25, v1, v17
	v_and_or_b32 v9, v6, s5, v9
	v_cndmask_b32_e32 v1, v3, v4, vcc
	v_and_b32_e32 v5, 0xffff, v31
	v_cndmask_b32_e32 v3, v6, v9, vcc
	v_and_or_b32 v5, v1, s5, v5
	v_cmp_lt_u16_e32 vcc, v23, v29
	v_lshlrev_b16_e32 v12, 8, v22
	v_cndmask_b32_e32 v1, v1, v5, vcc
	v_or_b32_sdwa v12, v25, v12 dst_sel:WORD_1 dst_unused:UNUSED_PAD src0_sel:DWORD src1_sel:DWORD
	v_min_u16_e32 v7, v30, v27
	v_and_or_b32 v12, v1, s3, v12
	v_cmp_lt_u16_e32 vcc, v25, v22
	v_and_or_b32 v4, v3, s5, v16
	v_cndmask_b32_e32 v1, v1, v12, vcc
	v_and_b32_sdwa v12, v2, s4 dst_sel:DWORD dst_unused:UNUSED_PAD src0_sel:WORD_1 src1_sel:DWORD
	v_lshlrev_b16_e32 v16, 8, v7
	v_or_b32_sdwa v12, v10, v12 dst_sel:WORD_1 dst_unused:UNUSED_PAD src0_sel:DWORD src1_sel:DWORD
	v_cmp_gt_u16_e32 vcc, v17, v8
	v_or_b32_sdwa v16, v2, v16 dst_sel:DWORD dst_unused:UNUSED_PAD src0_sel:BYTE_0 src1_sel:DWORD
	v_max_u16_e32 v6, v30, v27
	v_cndmask_b32_e32 v3, v3, v4, vcc
	v_cndmask_b32_e32 v15, v8, v24, vcc
	;; [unrolled: 1-line block ×3, first 2 shown]
	v_or_b32_sdwa v12, v16, v12 dst_sel:DWORD dst_unused:UNUSED_PAD src0_sel:WORD_0 src1_sel:DWORD
	v_and_b32_e32 v16, 0xffffff00, v1
	v_cmp_lt_u16_e32 vcc, v7, v10
	v_min_u16_e32 v9, v23, v29
	v_or_b32_e32 v16, v6, v16
	v_cndmask_b32_e32 v2, v2, v12, vcc
	v_and_b32_e32 v16, 0xffff, v16
	v_and_b32_sdwa v12, v2, s2 dst_sel:DWORD dst_unused:UNUSED_PAD src0_sel:WORD_1 src1_sel:DWORD
	v_max_u16_e32 v17, v7, v10
	v_min_u16_e32 v7, v7, v10
	v_lshlrev_b16_e32 v10, 8, v9
	v_and_or_b32 v16, v1, s5, v16
	v_or_b32_sdwa v10, v12, v10 dst_sel:WORD_1 dst_unused:UNUSED_PAD src0_sel:DWORD src1_sel:DWORD
	v_cmp_lt_u16_e32 vcc, v9, v6
	v_min_u16_e32 v14, v25, v22
	v_and_or_b32 v10, v2, s3, v10
	v_cndmask_b32_e32 v1, v1, v16, vcc
	v_max_u16_e32 v5, v23, v29
	v_cndmask_b32_e32 v2, v2, v10, vcc
	v_and_b32_sdwa v10, v1, s4 dst_sel:DWORD dst_unused:UNUSED_PAD src0_sel:WORD_1 src1_sel:DWORD
	v_max_u16_e32 v12, v9, v6
	v_min_u16_e32 v6, v9, v6
	v_lshlrev_b16_e32 v9, 8, v14
	v_or_b32_sdwa v10, v5, v10 dst_sel:WORD_1 dst_unused:UNUSED_PAD src0_sel:DWORD src1_sel:DWORD
	v_or_b32_sdwa v9, v1, v9 dst_sel:DWORD dst_unused:UNUSED_PAD src0_sel:BYTE_0 src1_sel:DWORD
	v_or_b32_sdwa v9, v9, v10 dst_sel:DWORD dst_unused:UNUSED_PAD src0_sel:WORD_0 src1_sel:DWORD
	v_cmp_lt_u16_e32 vcc, v14, v5
	v_cndmask_b32_e32 v1, v1, v9, vcc
	v_and_b32_sdwa v9, v1, s2 dst_sel:DWORD dst_unused:UNUSED_PAD src0_sel:WORD_1 src1_sel:DWORD
	v_max_u16_e32 v10, v14, v5
	v_min_u16_e32 v5, v14, v5
	v_lshlrev_b16_e32 v14, 8, v8
	v_max_u16_e32 v13, v25, v22
	v_or_b32_sdwa v9, v9, v14 dst_sel:WORD_1 dst_unused:UNUSED_PAD src0_sel:DWORD src1_sel:DWORD
	v_and_b32_e32 v4, 0xffffff00, v3
	v_and_or_b32 v9, v1, s3, v9
	v_cmp_lt_u16_e32 vcc, v8, v13
	v_or_b32_e32 v4, v13, v4
	v_cndmask_b32_e32 v1, v1, v9, vcc
	v_lshlrev_b16_e32 v9, 8, v11
	v_and_b32_e32 v4, 0xffff, v4
	v_or_b32_e32 v9, v7, v9
	v_and_or_b32 v4, v3, s5, v4
	v_and_b32_e32 v9, 0xffff, v9
	v_and_or_b32 v9, v2, s5, v9
	v_cndmask_b32_e32 v3, v3, v4, vcc
	v_cmp_lt_u16_e32 vcc, v7, v11
	v_cndmask_b32_e32 v2, v2, v9, vcc
	v_min_u16_e32 v9, v7, v11
	v_max_u16_e32 v7, v7, v11
	v_lshlrev_b16_e32 v11, 8, v17
	v_or_b32_sdwa v11, v6, v11 dst_sel:WORD_1 dst_unused:UNUSED_PAD src0_sel:DWORD src1_sel:DWORD
	v_and_or_b32 v11, v2, s3, v11
	v_cmp_lt_u16_e32 vcc, v6, v17
	v_cndmask_b32_e32 v2, v2, v11, vcc
	v_lshlrev_b16_e32 v11, 8, v12
	v_or_b32_e32 v11, v5, v11
	v_and_b32_e32 v11, 0xffff, v11
	v_max_u16_e32 v4, v8, v13
	v_and_or_b32 v11, v1, s5, v11
	v_cmp_lt_u16_e32 vcc, v5, v12
	v_lshlrev_b16_e32 v14, 8, v4
	v_min_u16_e32 v8, v8, v13
	v_cndmask_b32_e32 v1, v1, v11, vcc
	v_max_u16_e32 v11, v5, v12
	v_min_u16_e32 v5, v5, v12
	v_lshlrev_b16_e32 v12, 8, v10
	v_or_b32_e32 v14, v15, v14
	v_or_b32_sdwa v12, v8, v12 dst_sel:WORD_1 dst_unused:UNUSED_PAD src0_sel:DWORD src1_sel:DWORD
	v_and_b32_e32 v14, 0xffff, v14
	v_and_or_b32 v12, v1, s3, v12
	v_cmp_lt_u16_e32 vcc, v8, v10
	v_and_or_b32 v14, v3, s5, v14
	v_max_u16_e32 v13, v6, v17
	v_min_u16_e32 v6, v6, v17
	v_cndmask_b32_e32 v1, v1, v12, vcc
	v_cmp_lt_u16_e32 vcc, v15, v4
	v_and_b32_sdwa v12, v2, s4 dst_sel:DWORD dst_unused:UNUSED_PAD src0_sel:WORD_1 src1_sel:DWORD
	v_cndmask_b32_e32 v3, v3, v14, vcc
	v_max_u16_e32 v14, v15, v4
	v_min_u16_e32 v4, v15, v4
	v_lshlrev_b16_e32 v15, 8, v6
	v_or_b32_sdwa v12, v7, v12 dst_sel:WORD_1 dst_unused:UNUSED_PAD src0_sel:DWORD src1_sel:DWORD
	v_or_b32_sdwa v15, v2, v15 dst_sel:DWORD dst_unused:UNUSED_PAD src0_sel:BYTE_0 src1_sel:DWORD
	v_or_b32_sdwa v12, v15, v12 dst_sel:DWORD dst_unused:UNUSED_PAD src0_sel:WORD_0 src1_sel:DWORD
	v_and_b32_e32 v15, 0xffffff00, v1
	v_cmp_lt_u16_e32 vcc, v6, v7
	v_or_b32_e32 v15, v13, v15
	v_cndmask_b32_e32 v2, v2, v12, vcc
	v_and_b32_e32 v15, 0xffff, v15
	v_and_b32_sdwa v12, v2, s2 dst_sel:DWORD dst_unused:UNUSED_PAD src0_sel:WORD_1 src1_sel:DWORD
	v_lshlrev_b16_e32 v18, 8, v5
	v_and_or_b32 v15, v1, s5, v15
	v_or_b32_sdwa v12, v12, v18 dst_sel:WORD_1 dst_unused:UNUSED_PAD src0_sel:DWORD src1_sel:DWORD
	v_cmp_lt_u16_e32 vcc, v5, v13
	v_max_u16_e32 v16, v8, v10
	v_min_u16_e32 v8, v8, v10
	v_and_or_b32 v12, v2, s3, v12
	v_cndmask_b32_e32 v1, v1, v15, vcc
	v_cndmask_b32_e32 v2, v2, v12, vcc
	v_and_b32_sdwa v12, v1, s4 dst_sel:DWORD dst_unused:UNUSED_PAD src0_sel:WORD_1 src1_sel:DWORD
	v_max_u16_e32 v15, v5, v13
	v_min_u16_e32 v5, v5, v13
	v_lshlrev_b16_e32 v13, 8, v8
	v_or_b32_sdwa v12, v11, v12 dst_sel:WORD_1 dst_unused:UNUSED_PAD src0_sel:DWORD src1_sel:DWORD
	v_or_b32_sdwa v13, v1, v13 dst_sel:DWORD dst_unused:UNUSED_PAD src0_sel:BYTE_0 src1_sel:DWORD
	v_or_b32_sdwa v12, v13, v12 dst_sel:DWORD dst_unused:UNUSED_PAD src0_sel:WORD_0 src1_sel:DWORD
	v_cmp_lt_u16_e32 vcc, v8, v11
	v_cndmask_b32_e32 v1, v1, v12, vcc
	v_and_b32_sdwa v12, v1, s2 dst_sel:DWORD dst_unused:UNUSED_PAD src0_sel:WORD_1 src1_sel:DWORD
	v_max_u16_e32 v13, v8, v11
	v_min_u16_e32 v8, v8, v11
	v_lshlrev_b16_e32 v11, 8, v4
	v_and_b32_e32 v10, 0xffffff00, v3
	v_or_b32_sdwa v11, v12, v11 dst_sel:WORD_1 dst_unused:UNUSED_PAD src0_sel:DWORD src1_sel:DWORD
	v_or_b32_e32 v10, v16, v10
	v_and_or_b32 v11, v1, s3, v11
	v_cmp_lt_u16_e32 vcc, v4, v16
	v_and_b32_e32 v10, 0xffff, v10
	v_max_u16_e32 v17, v6, v7
	v_min_u16_e32 v7, v6, v7
	v_cndmask_b32_e32 v1, v1, v11, vcc
	v_lshlrev_b16_e32 v11, 8, v9
	v_and_or_b32 v10, v3, s5, v10
	v_or_b32_e32 v11, v7, v11
	v_and_b32_e32 v11, 0xffff, v11
	v_cndmask_b32_e32 v3, v3, v10, vcc
	v_cmp_lt_u16_e32 vcc, v6, v9
	v_and_or_b32 v11, v2, s5, v11
	v_cndmask_b32_e32 v6, v9, v7, vcc
	v_cndmask_b32_e32 v7, v7, v9, vcc
	v_lshlrev_b16_e32 v9, 8, v17
	v_cndmask_b32_e32 v2, v2, v11, vcc
	v_or_b32_sdwa v9, v5, v9 dst_sel:WORD_1 dst_unused:UNUSED_PAD src0_sel:DWORD src1_sel:DWORD
	v_and_or_b32 v9, v2, s3, v9
	v_cmp_lt_u16_e32 vcc, v5, v17
	v_cndmask_b32_e32 v2, v2, v9, vcc
	v_lshlrev_b16_e32 v9, 8, v15
	v_or_b32_e32 v9, v8, v9
	v_and_b32_e32 v9, 0xffff, v9
	v_and_or_b32 v9, v1, s5, v9
	v_cmp_lt_u16_e32 vcc, v8, v15
	v_max_u16_e32 v10, v4, v16
	v_min_u16_e32 v4, v4, v16
	v_cndmask_b32_e32 v1, v1, v9, vcc
	v_max_u16_e32 v9, v8, v15
	v_min_u16_e32 v8, v8, v15
	v_lshlrev_b16_e32 v15, 8, v13
	v_or_b32_sdwa v15, v4, v15 dst_sel:WORD_1 dst_unused:UNUSED_PAD src0_sel:DWORD src1_sel:DWORD
	v_lshlrev_b16_e32 v12, 8, v10
	v_and_or_b32 v15, v1, s3, v15
	v_cmp_lt_u16_e32 vcc, v4, v13
	v_or_b32_e32 v12, v14, v12
	v_max_u16_e32 v11, v5, v17
	v_min_u16_e32 v5, v5, v17
	v_cndmask_b32_e32 v1, v1, v15, vcc
	v_cmp_gt_u16_e32 vcc, v16, v14
	v_and_b32_e32 v12, 0xffff, v12
	v_and_b32_sdwa v15, v2, s4 dst_sel:DWORD dst_unused:UNUSED_PAD src0_sel:WORD_1 src1_sel:DWORD
	v_max_u16_e32 v17, v4, v13
	v_min_u16_e32 v4, v4, v13
	v_cndmask_b32_e32 v13, v14, v10, vcc
	v_cndmask_b32_e32 v10, v10, v14, vcc
	v_lshlrev_b16_e32 v14, 8, v5
	v_and_or_b32 v12, v3, s5, v12
	v_or_b32_sdwa v15, v7, v15 dst_sel:WORD_1 dst_unused:UNUSED_PAD src0_sel:DWORD src1_sel:DWORD
	v_or_b32_sdwa v14, v2, v14 dst_sel:DWORD dst_unused:UNUSED_PAD src0_sel:BYTE_0 src1_sel:DWORD
	v_cndmask_b32_e32 v3, v3, v12, vcc
	v_or_b32_sdwa v14, v14, v15 dst_sel:DWORD dst_unused:UNUSED_PAD src0_sel:WORD_0 src1_sel:DWORD
	v_and_b32_e32 v15, 0xffffff00, v1
	v_cmp_lt_u16_e32 vcc, v5, v7
	v_or_b32_e32 v15, v11, v15
	v_cndmask_b32_e32 v2, v2, v14, vcc
	v_and_b32_e32 v15, 0xffff, v15
	v_and_b32_sdwa v14, v2, s2 dst_sel:DWORD dst_unused:UNUSED_PAD src0_sel:WORD_1 src1_sel:DWORD
	v_max_u16_e32 v16, v5, v7
	v_min_u16_e32 v5, v5, v7
	v_lshlrev_b16_e32 v7, 8, v8
	v_and_or_b32 v15, v1, s5, v15
	v_or_b32_sdwa v7, v14, v7 dst_sel:WORD_1 dst_unused:UNUSED_PAD src0_sel:DWORD src1_sel:DWORD
	v_cmp_lt_u16_e32 vcc, v8, v11
	v_and_or_b32 v7, v2, s3, v7
	v_cndmask_b32_e32 v1, v1, v15, vcc
	v_and_b32_sdwa v14, v1, s4 dst_sel:DWORD dst_unused:UNUSED_PAD src0_sel:WORD_1 src1_sel:DWORD
	v_cndmask_b32_e32 v2, v2, v7, vcc
	v_max_u16_e32 v7, v8, v11
	v_min_u16_e32 v8, v8, v11
	v_lshlrev_b16_e32 v11, 8, v4
	v_or_b32_sdwa v14, v9, v14 dst_sel:WORD_1 dst_unused:UNUSED_PAD src0_sel:DWORD src1_sel:DWORD
	v_or_b32_sdwa v11, v1, v11 dst_sel:DWORD dst_unused:UNUSED_PAD src0_sel:BYTE_0 src1_sel:DWORD
	v_or_b32_sdwa v11, v11, v14 dst_sel:DWORD dst_unused:UNUSED_PAD src0_sel:WORD_0 src1_sel:DWORD
	v_cmp_lt_u16_e32 vcc, v4, v9
	v_cndmask_b32_e32 v1, v1, v11, vcc
	v_and_b32_sdwa v11, v1, s2 dst_sel:DWORD dst_unused:UNUSED_PAD src0_sel:WORD_1 src1_sel:DWORD
	v_max_u16_e32 v14, v4, v9
	v_min_u16_e32 v4, v4, v9
	v_lshlrev_b16_e32 v9, 8, v10
	v_or_b32_sdwa v9, v11, v9 dst_sel:WORD_1 dst_unused:UNUSED_PAD src0_sel:DWORD src1_sel:DWORD
	v_and_b32_e32 v12, 0xffffff00, v3
	v_and_or_b32 v9, v1, s3, v9
	v_cmp_lt_u16_e32 vcc, v10, v17
	v_or_b32_e32 v12, v17, v12
	v_cndmask_b32_e32 v1, v1, v9, vcc
	v_lshlrev_b16_e32 v9, 8, v6
	v_and_b32_e32 v12, 0xffff, v12
	v_or_b32_e32 v9, v5, v9
	v_and_or_b32 v12, v3, s5, v12
	v_and_b32_e32 v9, 0xffff, v9
	v_and_or_b32 v9, v2, s5, v9
	v_cndmask_b32_e32 v3, v3, v12, vcc
	v_cmp_lt_u16_e32 vcc, v5, v6
	v_cndmask_b32_e32 v2, v2, v9, vcc
	v_max_u16_e32 v5, v5, v6
	v_lshlrev_b16_e32 v6, 8, v16
	v_lshlrev_b16_e32 v9, 8, v7
	v_or_b32_sdwa v6, v8, v6 dst_sel:WORD_1 dst_unused:UNUSED_PAD src0_sel:DWORD src1_sel:DWORD
	v_or_b32_e32 v9, v4, v9
	v_and_or_b32 v6, v2, s3, v6
	v_and_b32_e32 v9, 0xffff, v9
	v_cmp_lt_u16_e32 vcc, v8, v16
	v_max_u16_e32 v11, v10, v17
	v_and_or_b32 v9, v1, s5, v9
	v_cndmask_b32_e32 v2, v2, v6, vcc
	v_cmp_lt_u16_e32 vcc, v4, v7
	v_lshlrev_b16_e32 v12, 8, v11
	v_min_u16_e32 v10, v10, v17
	v_cndmask_b32_e32 v1, v1, v9, vcc
	v_max_u16_e32 v9, v4, v7
	v_min_u16_e32 v4, v4, v7
	v_lshlrev_b16_e32 v7, 8, v14
	v_or_b32_e32 v12, v13, v12
	v_or_b32_sdwa v7, v10, v7 dst_sel:WORD_1 dst_unused:UNUSED_PAD src0_sel:DWORD src1_sel:DWORD
	v_and_b32_e32 v12, 0xffff, v12
	v_and_or_b32 v7, v1, s3, v7
	v_cmp_lt_u16_e32 vcc, v10, v14
	v_and_or_b32 v12, v3, s5, v12
	v_cndmask_b32_e32 v1, v1, v7, vcc
	v_cmp_lt_u16_e32 vcc, v13, v11
	v_cndmask_b32_e32 v12, v3, v12, vcc
	v_max_u16_e32 v6, v8, v16
	v_min_u16_e32 v8, v8, v16
	v_max_u16_e32 v15, v10, v14
	v_and_b32_e32 v3, 0xffffff00, v12
	v_and_b32_sdwa v7, v2, s4 dst_sel:DWORD dst_unused:UNUSED_PAD src0_sel:WORD_1 src1_sel:DWORD
	v_min_u16_e32 v10, v10, v14
	v_or_b32_e32 v14, v15, v3
	v_min_u16_e32 v3, v13, v11
	v_lshlrev_b16_e32 v11, 8, v8
	v_or_b32_sdwa v7, v5, v7 dst_sel:WORD_1 dst_unused:UNUSED_PAD src0_sel:DWORD src1_sel:DWORD
	v_or_b32_sdwa v11, v2, v11 dst_sel:DWORD dst_unused:UNUSED_PAD src0_sel:BYTE_0 src1_sel:DWORD
	v_or_b32_sdwa v7, v11, v7 dst_sel:DWORD dst_unused:UNUSED_PAD src0_sel:WORD_0 src1_sel:DWORD
	v_and_b32_e32 v11, 0xffffff00, v1
	v_cmp_lt_u16_e32 vcc, v8, v5
	v_or_b32_e32 v11, v6, v11
	v_cndmask_b32_e32 v2, v2, v7, vcc
	v_and_b32_e32 v11, 0xffff, v11
	v_and_b32_sdwa v5, v2, s2 dst_sel:DWORD dst_unused:UNUSED_PAD src0_sel:WORD_1 src1_sel:DWORD
	v_lshlrev_b16_e32 v7, 8, v4
	v_and_or_b32 v11, v1, s5, v11
	v_or_b32_sdwa v5, v5, v7 dst_sel:WORD_1 dst_unused:UNUSED_PAD src0_sel:DWORD src1_sel:DWORD
	v_cmp_lt_u16_e32 vcc, v4, v6
	v_and_or_b32 v5, v2, s3, v5
	v_cndmask_b32_e32 v1, v1, v11, vcc
	v_and_b32_sdwa v4, v1, s4 dst_sel:DWORD dst_unused:UNUSED_PAD src0_sel:WORD_1 src1_sel:DWORD
	v_cndmask_b32_e32 v2, v2, v5, vcc
	v_lshlrev_b16_e32 v5, 8, v10
	v_or_b32_sdwa v4, v9, v4 dst_sel:WORD_1 dst_unused:UNUSED_PAD src0_sel:DWORD src1_sel:DWORD
	v_or_b32_sdwa v5, v1, v5 dst_sel:DWORD dst_unused:UNUSED_PAD src0_sel:BYTE_0 src1_sel:DWORD
	v_or_b32_sdwa v4, v5, v4 dst_sel:DWORD dst_unused:UNUSED_PAD src0_sel:WORD_0 src1_sel:DWORD
	v_cmp_lt_u16_e32 vcc, v10, v9
	v_cndmask_b32_e32 v1, v1, v4, vcc
	v_and_b32_sdwa v4, v1, s2 dst_sel:DWORD dst_unused:UNUSED_PAD src0_sel:WORD_1 src1_sel:DWORD
	v_lshlrev_b16_e32 v5, 8, v3
	v_or_b32_sdwa v4, v4, v5 dst_sel:WORD_1 dst_unused:UNUSED_PAD src0_sel:DWORD src1_sel:DWORD
	v_and_or_b32 v4, v1, s3, v4
	v_cmp_lt_u16_e32 vcc, v3, v15
	v_cndmask_b32_e32 v3, v1, v4, vcc
	v_cndmask_b32_e32 v1, v12, v14, vcc
	global_store_short v0, v1, s[0:1] offset:8
	global_store_dwordx2 v0, v[2:3], s[0:1]
	s_endpgm
	.section	.rodata,"a",@progbits
	.p2align	6, 0x0
	.amdhsa_kernel _Z9sort_keysILj256ELj10EhN10test_utils4lessEEvPT1_T2_
		.amdhsa_group_segment_fixed_size 0
		.amdhsa_private_segment_fixed_size 0
		.amdhsa_kernarg_size 12
		.amdhsa_user_sgpr_count 6
		.amdhsa_user_sgpr_private_segment_buffer 1
		.amdhsa_user_sgpr_dispatch_ptr 0
		.amdhsa_user_sgpr_queue_ptr 0
		.amdhsa_user_sgpr_kernarg_segment_ptr 1
		.amdhsa_user_sgpr_dispatch_id 0
		.amdhsa_user_sgpr_flat_scratch_init 0
		.amdhsa_user_sgpr_kernarg_preload_length 0
		.amdhsa_user_sgpr_kernarg_preload_offset 0
		.amdhsa_user_sgpr_private_segment_size 0
		.amdhsa_uses_dynamic_stack 0
		.amdhsa_system_sgpr_private_segment_wavefront_offset 0
		.amdhsa_system_sgpr_workgroup_id_x 1
		.amdhsa_system_sgpr_workgroup_id_y 0
		.amdhsa_system_sgpr_workgroup_id_z 0
		.amdhsa_system_sgpr_workgroup_info 0
		.amdhsa_system_vgpr_workitem_id 0
		.amdhsa_next_free_vgpr 34
		.amdhsa_next_free_sgpr 10
		.amdhsa_accum_offset 36
		.amdhsa_reserve_vcc 1
		.amdhsa_reserve_flat_scratch 0
		.amdhsa_float_round_mode_32 0
		.amdhsa_float_round_mode_16_64 0
		.amdhsa_float_denorm_mode_32 3
		.amdhsa_float_denorm_mode_16_64 3
		.amdhsa_dx10_clamp 1
		.amdhsa_ieee_mode 1
		.amdhsa_fp16_overflow 0
		.amdhsa_tg_split 0
		.amdhsa_exception_fp_ieee_invalid_op 0
		.amdhsa_exception_fp_denorm_src 0
		.amdhsa_exception_fp_ieee_div_zero 0
		.amdhsa_exception_fp_ieee_overflow 0
		.amdhsa_exception_fp_ieee_underflow 0
		.amdhsa_exception_fp_ieee_inexact 0
		.amdhsa_exception_int_div_zero 0
	.end_amdhsa_kernel
	.section	.text._Z9sort_keysILj256ELj10EhN10test_utils4lessEEvPT1_T2_,"axG",@progbits,_Z9sort_keysILj256ELj10EhN10test_utils4lessEEvPT1_T2_,comdat
.Lfunc_end4:
	.size	_Z9sort_keysILj256ELj10EhN10test_utils4lessEEvPT1_T2_, .Lfunc_end4-_Z9sort_keysILj256ELj10EhN10test_utils4lessEEvPT1_T2_
                                        ; -- End function
	.section	.AMDGPU.csdata,"",@progbits
; Kernel info:
; codeLenInByte = 2336
; NumSgprs: 14
; NumVgprs: 34
; NumAgprs: 0
; TotalNumVgprs: 34
; ScratchSize: 0
; MemoryBound: 0
; FloatMode: 240
; IeeeMode: 1
; LDSByteSize: 0 bytes/workgroup (compile time only)
; SGPRBlocks: 1
; VGPRBlocks: 4
; NumSGPRsForWavesPerEU: 14
; NumVGPRsForWavesPerEU: 34
; AccumOffset: 36
; Occupancy: 8
; WaveLimiterHint : 0
; COMPUTE_PGM_RSRC2:SCRATCH_EN: 0
; COMPUTE_PGM_RSRC2:USER_SGPR: 6
; COMPUTE_PGM_RSRC2:TRAP_HANDLER: 0
; COMPUTE_PGM_RSRC2:TGID_X_EN: 1
; COMPUTE_PGM_RSRC2:TGID_Y_EN: 0
; COMPUTE_PGM_RSRC2:TGID_Z_EN: 0
; COMPUTE_PGM_RSRC2:TIDIG_COMP_CNT: 0
; COMPUTE_PGM_RSRC3_GFX90A:ACCUM_OFFSET: 8
; COMPUTE_PGM_RSRC3_GFX90A:TG_SPLIT: 0
	.section	.text._Z9sort_keysILj256ELj9EyN10test_utils4lessEEvPT1_T2_,"axG",@progbits,_Z9sort_keysILj256ELj9EyN10test_utils4lessEEvPT1_T2_,comdat
	.protected	_Z9sort_keysILj256ELj9EyN10test_utils4lessEEvPT1_T2_ ; -- Begin function _Z9sort_keysILj256ELj9EyN10test_utils4lessEEvPT1_T2_
	.globl	_Z9sort_keysILj256ELj9EyN10test_utils4lessEEvPT1_T2_
	.p2align	8
	.type	_Z9sort_keysILj256ELj9EyN10test_utils4lessEEvPT1_T2_,@function
_Z9sort_keysILj256ELj9EyN10test_utils4lessEEvPT1_T2_: ; @_Z9sort_keysILj256ELj9EyN10test_utils4lessEEvPT1_T2_
; %bb.0:
	s_load_dwordx2 s[0:1], s[4:5], 0x0
	s_mul_i32 s2, s6, 0x900
	s_mov_b32 s3, 0
	s_lshl_b64 s[2:3], s[2:3], 3
	v_mul_u32_u24_e32 v0, 9, v0
	s_waitcnt lgkmcnt(0)
	s_add_u32 s14, s0, s2
	s_addc_u32 s15, s1, s3
	v_lshlrev_b32_e32 v0, 3, v0
	global_load_dwordx4 v[2:5], v0, s[14:15]
	global_load_dwordx4 v[6:9], v0, s[14:15] offset:16
	global_load_dwordx4 v[10:13], v0, s[14:15] offset:32
	;; [unrolled: 1-line block ×3, first 2 shown]
	global_load_dwordx2 v[18:19], v0, s[14:15] offset:64
	s_waitcnt vmcnt(4)
	v_cmp_lt_u64_e32 vcc, v[4:5], v[2:3]
	v_cmp_gt_u64_e64 s[0:1], v[4:5], v[2:3]
	s_waitcnt vmcnt(3)
	v_cmp_lt_u64_e64 s[2:3], v[8:9], v[6:7]
	v_cmp_gt_u64_e64 s[4:5], v[8:9], v[6:7]
	s_waitcnt vmcnt(2)
	v_cmp_lt_u64_e64 s[6:7], v[12:13], v[10:11]
	v_cndmask_b32_e32 v1, v5, v3, vcc
	v_cndmask_b32_e64 v21, v3, v5, s[0:1]
	v_cndmask_b32_e64 v23, v7, v9, s[4:5]
	v_cmp_gt_u64_e64 s[8:9], v[12:13], v[10:11]
	s_waitcnt vmcnt(1)
	v_cmp_lt_u64_e64 s[10:11], v[16:17], v[14:15]
	v_cmp_gt_u64_e64 s[12:13], v[16:17], v[14:15]
	v_cndmask_b32_e32 v33, v4, v2, vcc
	v_cndmask_b32_e32 v29, v3, v5, vcc
	;; [unrolled: 1-line block ×3, first 2 shown]
	v_cndmask_b32_e64 v20, v2, v4, s[0:1]
	v_cndmask_b32_e64 v22, v6, v8, s[4:5]
	;; [unrolled: 1-line block ×14, first 2 shown]
	v_cmp_lt_u64_e32 vcc, v[2:3], v[20:21]
	v_cmp_gt_u64_e64 s[0:1], v[2:3], v[20:21]
	v_cmp_lt_u64_e64 s[2:3], v[4:5], v[22:23]
	v_cmp_gt_u64_e64 s[4:5], v[4:5], v[22:23]
	v_cndmask_b32_e64 v31, v13, v11, s[6:7]
	v_cndmask_b32_e64 v32, v17, v15, s[10:11]
	;; [unrolled: 1-line block ×4, first 2 shown]
	v_cndmask_b32_e32 v37, v2, v20, vcc
	v_cndmask_b32_e64 v9, v21, v3, s[0:1]
	v_cndmask_b32_e64 v38, v4, v22, s[2:3]
	;; [unrolled: 1-line block ×3, first 2 shown]
	v_cmp_lt_u64_e64 s[6:7], v[6:7], v[24:25]
	v_cmp_gt_u64_e64 s[8:9], v[6:7], v[24:25]
	s_waitcnt vmcnt(0)
	v_cmp_lt_u64_e64 s[10:11], v[18:19], v[26:27]
	v_cmp_gt_u64_e64 s[12:13], v[18:19], v[26:27]
	v_cndmask_b32_e32 v41, v3, v21, vcc
	v_cndmask_b32_e32 v33, v33, v2, vcc
	;; [unrolled: 1-line block ×3, first 2 shown]
	v_cndmask_b32_e64 v8, v20, v2, s[0:1]
	v_cndmask_b32_e32 v20, v20, v2, vcc
	v_cndmask_b32_e32 v21, v21, v3, vcc
	v_cndmask_b32_e64 v42, v5, v23, s[2:3]
	v_cndmask_b32_e64 v34, v34, v4, s[2:3]
	;; [unrolled: 1-line block ×6, first 2 shown]
	v_cmp_lt_u64_e32 vcc, v[2:3], v[28:29]
	v_cndmask_b32_e64 v39, v6, v24, s[6:7]
	v_cndmask_b32_e64 v13, v25, v7, s[8:9]
	;; [unrolled: 1-line block ×16, first 2 shown]
	v_cndmask_b32_e32 v1, v1, v29, vcc
	v_cndmask_b32_e32 v26, v33, v28, vcc
	v_cndmask_b32_e32 v3, v29, v21, vcc
	v_cndmask_b32_e32 v2, v28, v20, vcc
	v_cndmask_b32_e32 v19, v21, v29, vcc
	v_cndmask_b32_e32 v18, v20, v28, vcc
	v_cmp_lt_u64_e32 vcc, v[4:5], v[8:9]
	v_cmp_gt_u64_e64 s[0:1], v[4:5], v[8:9]
	v_cndmask_b32_e32 v27, v30, v9, vcc
	v_cndmask_b32_e32 v28, v34, v8, vcc
	v_cndmask_b32_e32 v29, v41, v5, vcc
	v_cndmask_b32_e32 v30, v37, v4, vcc
	v_cndmask_b32_e64 v21, v9, v5, s[0:1]
	v_cndmask_b32_e64 v20, v8, v4, s[0:1]
	v_cndmask_b32_e32 v5, v9, v5, vcc
	v_cndmask_b32_e32 v4, v8, v4, vcc
	v_cmp_lt_u64_e32 vcc, v[6:7], v[10:11]
	v_cmp_gt_u64_e64 s[0:1], v[6:7], v[10:11]
	v_cndmask_b32_e32 v31, v31, v11, vcc
	v_cndmask_b32_e32 v23, v23, v10, vcc
	v_cndmask_b32_e32 v33, v42, v7, vcc
	v_cndmask_b32_e32 v34, v38, v6, vcc
	v_cndmask_b32_e64 v9, v11, v7, s[0:1]
	v_cndmask_b32_e64 v8, v10, v6, s[0:1]
	v_cndmask_b32_e32 v7, v11, v7, vcc
	v_cndmask_b32_e32 v6, v10, v6, vcc
	;; [unrolled: 10-line block ×6, first 2 shown]
	v_cmp_gt_u64_e32 vcc, v[12:13], v[14:15]
	v_cndmask_b32_e32 v24, v24, v37, vcc
	v_cndmask_b32_e32 v38, v40, v36, vcc
	;; [unrolled: 1-line block ×8, first 2 shown]
	v_cmp_lt_u64_e32 vcc, v[4:5], v[2:3]
	v_cndmask_b32_e32 v1, v1, v3, vcc
	v_cndmask_b32_e32 v26, v26, v2, vcc
	;; [unrolled: 1-line block ×4, first 2 shown]
	v_cmp_gt_u64_e32 vcc, v[4:5], v[2:3]
	v_cndmask_b32_e32 v3, v3, v5, vcc
	v_cndmask_b32_e32 v2, v2, v4, vcc
	v_cmp_lt_u64_e32 vcc, v[6:7], v[16:17]
	v_cmp_gt_u64_e64 s[0:1], v[6:7], v[16:17]
	v_cndmask_b32_e32 v27, v27, v17, vcc
	v_cndmask_b32_e32 v28, v28, v16, vcc
	v_cndmask_b32_e32 v29, v29, v7, vcc
	v_cndmask_b32_e32 v30, v30, v6, vcc
	v_cndmask_b32_e64 v5, v17, v7, s[0:1]
	v_cndmask_b32_e64 v4, v16, v6, s[0:1]
	v_cndmask_b32_e32 v7, v17, v7, vcc
	v_cndmask_b32_e32 v6, v16, v6, vcc
	v_cmp_lt_u64_e32 vcc, v[8:9], v[18:19]
	v_cmp_gt_u64_e64 s[0:1], v[8:9], v[18:19]
	v_cndmask_b32_e32 v31, v31, v19, vcc
	v_cndmask_b32_e32 v23, v23, v18, vcc
	v_cndmask_b32_e32 v33, v33, v9, vcc
	v_cndmask_b32_e32 v34, v34, v8, vcc
	v_cndmask_b32_e64 v17, v19, v9, s[0:1]
	v_cndmask_b32_e64 v16, v18, v8, s[0:1]
	;; [unrolled: 10-line block ×7, first 2 shown]
	v_cndmask_b32_e32 v11, v19, v11, vcc
	v_cndmask_b32_e32 v10, v18, v10, vcc
	v_cmp_lt_u64_e32 vcc, v[6:7], v[14:15]
	v_cndmask_b32_e32 v1, v1, v15, vcc
	v_cndmask_b32_e32 v26, v26, v14, vcc
	;; [unrolled: 1-line block ×6, first 2 shown]
	v_cmp_lt_u64_e32 vcc, v[4:5], v[20:21]
	v_cmp_gt_u64_e64 s[0:1], v[4:5], v[20:21]
	v_cndmask_b32_e32 v27, v27, v21, vcc
	v_cndmask_b32_e32 v28, v28, v20, vcc
	v_cndmask_b32_e32 v29, v29, v5, vcc
	v_cndmask_b32_e32 v30, v30, v4, vcc
	v_cndmask_b32_e64 v19, v21, v5, s[0:1]
	v_cndmask_b32_e64 v18, v20, v4, s[0:1]
	v_cndmask_b32_e32 v5, v21, v5, vcc
	v_cndmask_b32_e32 v4, v20, v4, vcc
	v_cmp_lt_u64_e32 vcc, v[12:13], v[2:3]
	v_cmp_gt_u64_e64 s[0:1], v[12:13], v[2:3]
	v_cndmask_b32_e32 v31, v31, v3, vcc
	v_cndmask_b32_e32 v32, v23, v2, vcc
	v_cndmask_b32_e32 v23, v33, v13, vcc
	v_cndmask_b32_e32 v33, v34, v12, vcc
	v_cndmask_b32_e64 v21, v3, v13, s[0:1]
	v_cndmask_b32_e64 v20, v2, v12, s[0:1]
	v_cndmask_b32_e32 v3, v3, v13, vcc
	v_cndmask_b32_e32 v2, v2, v12, vcc
	;; [unrolled: 10-line block ×6, first 2 shown]
	v_cmp_gt_u64_e32 vcc, v[8:9], v[16:17]
	v_cndmask_b32_e32 v21, v39, v37, vcc
	v_cndmask_b32_e32 v20, v38, v35, vcc
	;; [unrolled: 1-line block ×6, first 2 shown]
	v_cmp_lt_u64_e32 vcc, v[14:15], v[6:7]
	v_cndmask_b32_e32 v5, v1, v7, vcc
	v_cndmask_b32_e32 v4, v40, v6, vcc
	v_cndmask_b32_e32 v3, v7, v15, vcc
	v_cndmask_b32_e32 v2, v6, v14, vcc
	v_cmp_lt_u64_e32 vcc, v[18:19], v[12:13]
	v_cndmask_b32_e32 v9, v42, v13, vcc
	v_cndmask_b32_e32 v8, v28, v12, vcc
	v_cndmask_b32_e32 v7, v29, v19, vcc
	v_cndmask_b32_e32 v6, v30, v18, vcc
	;; [unrolled: 5-line block ×4, first 2 shown]
	global_store_dwordx4 v0, v[2:5], s[14:15]
	global_store_dwordx4 v0, v[6:9], s[14:15] offset:16
	global_store_dwordx4 v0, v[10:13], s[14:15] offset:32
	;; [unrolled: 1-line block ×3, first 2 shown]
	global_store_dwordx2 v0, v[20:21], s[14:15] offset:64
	s_endpgm
	.section	.rodata,"a",@progbits
	.p2align	6, 0x0
	.amdhsa_kernel _Z9sort_keysILj256ELj9EyN10test_utils4lessEEvPT1_T2_
		.amdhsa_group_segment_fixed_size 0
		.amdhsa_private_segment_fixed_size 0
		.amdhsa_kernarg_size 12
		.amdhsa_user_sgpr_count 6
		.amdhsa_user_sgpr_private_segment_buffer 1
		.amdhsa_user_sgpr_dispatch_ptr 0
		.amdhsa_user_sgpr_queue_ptr 0
		.amdhsa_user_sgpr_kernarg_segment_ptr 1
		.amdhsa_user_sgpr_dispatch_id 0
		.amdhsa_user_sgpr_flat_scratch_init 0
		.amdhsa_user_sgpr_kernarg_preload_length 0
		.amdhsa_user_sgpr_kernarg_preload_offset 0
		.amdhsa_user_sgpr_private_segment_size 0
		.amdhsa_uses_dynamic_stack 0
		.amdhsa_system_sgpr_private_segment_wavefront_offset 0
		.amdhsa_system_sgpr_workgroup_id_x 1
		.amdhsa_system_sgpr_workgroup_id_y 0
		.amdhsa_system_sgpr_workgroup_id_z 0
		.amdhsa_system_sgpr_workgroup_info 0
		.amdhsa_system_vgpr_workitem_id 0
		.amdhsa_next_free_vgpr 45
		.amdhsa_next_free_sgpr 16
		.amdhsa_accum_offset 48
		.amdhsa_reserve_vcc 1
		.amdhsa_reserve_flat_scratch 0
		.amdhsa_float_round_mode_32 0
		.amdhsa_float_round_mode_16_64 0
		.amdhsa_float_denorm_mode_32 3
		.amdhsa_float_denorm_mode_16_64 3
		.amdhsa_dx10_clamp 1
		.amdhsa_ieee_mode 1
		.amdhsa_fp16_overflow 0
		.amdhsa_tg_split 0
		.amdhsa_exception_fp_ieee_invalid_op 0
		.amdhsa_exception_fp_denorm_src 0
		.amdhsa_exception_fp_ieee_div_zero 0
		.amdhsa_exception_fp_ieee_overflow 0
		.amdhsa_exception_fp_ieee_underflow 0
		.amdhsa_exception_fp_ieee_inexact 0
		.amdhsa_exception_int_div_zero 0
	.end_amdhsa_kernel
	.section	.text._Z9sort_keysILj256ELj9EyN10test_utils4lessEEvPT1_T2_,"axG",@progbits,_Z9sort_keysILj256ELj9EyN10test_utils4lessEEvPT1_T2_,comdat
.Lfunc_end5:
	.size	_Z9sort_keysILj256ELj9EyN10test_utils4lessEEvPT1_T2_, .Lfunc_end5-_Z9sort_keysILj256ELj9EyN10test_utils4lessEEvPT1_T2_
                                        ; -- End function
	.section	.AMDGPU.csdata,"",@progbits
; Kernel info:
; codeLenInByte = 1896
; NumSgprs: 20
; NumVgprs: 45
; NumAgprs: 0
; TotalNumVgprs: 45
; ScratchSize: 0
; MemoryBound: 0
; FloatMode: 240
; IeeeMode: 1
; LDSByteSize: 0 bytes/workgroup (compile time only)
; SGPRBlocks: 2
; VGPRBlocks: 5
; NumSGPRsForWavesPerEU: 20
; NumVGPRsForWavesPerEU: 45
; AccumOffset: 48
; Occupancy: 8
; WaveLimiterHint : 0
; COMPUTE_PGM_RSRC2:SCRATCH_EN: 0
; COMPUTE_PGM_RSRC2:USER_SGPR: 6
; COMPUTE_PGM_RSRC2:TRAP_HANDLER: 0
; COMPUTE_PGM_RSRC2:TGID_X_EN: 1
; COMPUTE_PGM_RSRC2:TGID_Y_EN: 0
; COMPUTE_PGM_RSRC2:TGID_Z_EN: 0
; COMPUTE_PGM_RSRC2:TIDIG_COMP_CNT: 0
; COMPUTE_PGM_RSRC3_GFX90A:ACCUM_OFFSET: 11
; COMPUTE_PGM_RSRC3_GFX90A:TG_SPLIT: 0
	.section	.text._Z9sort_keysILj256ELj8EtN10test_utils4lessEEvPT1_T2_,"axG",@progbits,_Z9sort_keysILj256ELj8EtN10test_utils4lessEEvPT1_T2_,comdat
	.protected	_Z9sort_keysILj256ELj8EtN10test_utils4lessEEvPT1_T2_ ; -- Begin function _Z9sort_keysILj256ELj8EtN10test_utils4lessEEvPT1_T2_
	.globl	_Z9sort_keysILj256ELj8EtN10test_utils4lessEEvPT1_T2_
	.p2align	8
	.type	_Z9sort_keysILj256ELj8EtN10test_utils4lessEEvPT1_T2_,@function
_Z9sort_keysILj256ELj8EtN10test_utils4lessEEvPT1_T2_: ; @_Z9sort_keysILj256ELj8EtN10test_utils4lessEEvPT1_T2_
; %bb.0:
	s_load_dwordx2 s[0:1], s[4:5], 0x0
	s_lshl_b32 s2, s6, 11
	s_mov_b32 s3, 0
	s_lshl_b64 s[2:3], s[2:3], 1
	v_lshlrev_b32_e32 v4, 4, v0
	s_waitcnt lgkmcnt(0)
	s_add_u32 s2, s0, s2
	s_addc_u32 s3, s1, s3
	global_load_dwordx4 v[0:3], v4, s[2:3]
	s_mov_b32 s4, 0x5040100
	s_mov_b32 s5, 0xffff
	s_waitcnt vmcnt(0)
	v_alignbit_b32 v5, v0, v0, 16
	v_cmp_lt_u16_sdwa vcc, v0, v0 src0_sel:WORD_1 src1_sel:DWORD
	v_min_u16_sdwa v6, v0, v0 dst_sel:DWORD dst_unused:UNUSED_PAD src0_sel:WORD_1 src1_sel:DWORD
	v_max_u16_sdwa v7, v0, v0 dst_sel:DWORD dst_unused:UNUSED_PAD src0_sel:WORD_1 src1_sel:DWORD
	v_alignbit_b32 v8, v1, v1, 16
	v_cndmask_b32_e32 v0, v0, v5, vcc
	v_cmp_lt_u16_sdwa vcc, v1, v1 src0_sel:WORD_1 src1_sel:DWORD
	v_max_u16_sdwa v9, v1, v1 dst_sel:DWORD dst_unused:UNUSED_PAD src0_sel:WORD_1 src1_sel:DWORD
	v_min_u16_sdwa v10, v1, v1 dst_sel:DWORD dst_unused:UNUSED_PAD src0_sel:WORD_1 src1_sel:DWORD
	v_alignbit_b32 v11, v2, v2, 16
	v_cndmask_b32_e32 v1, v1, v8, vcc
	v_cmp_lt_u16_sdwa vcc, v2, v2 src0_sel:WORD_1 src1_sel:DWORD
	v_max_u16_sdwa v12, v2, v2 dst_sel:DWORD dst_unused:UNUSED_PAD src0_sel:WORD_1 src1_sel:DWORD
	v_min_u16_sdwa v13, v2, v2 dst_sel:DWORD dst_unused:UNUSED_PAD src0_sel:WORD_1 src1_sel:DWORD
	;; [unrolled: 5-line block ×3, first 2 shown]
	v_cndmask_b32_e32 v3, v3, v14, vcc
	v_min_u16_e32 v8, v10, v7
	v_perm_b32 v19, v10, v0, s4
	v_bfi_b32 v20, s5, v7, v1
	v_cmp_lt_u16_e32 vcc, v10, v7
	v_perm_b32 v23, v6, v8, s4
	v_cndmask_b32_e32 v0, v0, v19, vcc
	v_cndmask_b32_e32 v1, v1, v20, vcc
	v_cmp_lt_u16_e32 vcc, v10, v6
	v_max_u16_e32 v5, v10, v7
	v_min_u16_e32 v14, v13, v9
	v_bfi_b32 v21, s5, v9, v2
	v_perm_b32 v20, v13, v1, s4
	v_cndmask_b32_e32 v0, v0, v23, vcc
	v_cndmask_b32_e32 v10, v6, v8, vcc
	;; [unrolled: 1-line block ×3, first 2 shown]
	v_cmp_lt_u16_e32 vcc, v13, v9
	v_perm_b32 v24, v5, v14, s4
	v_min_u16_e32 v26, v14, v5
	v_cndmask_b32_e32 v1, v1, v20, vcc
	v_cndmask_b32_e32 v2, v2, v21, vcc
	v_cmp_lt_u16_e32 vcc, v14, v5
	v_max_u16_e32 v11, v13, v9
	v_bfi_b32 v22, s5, v12, v3
	v_perm_b32 v8, v26, v0, s4
	v_min_u16_e32 v13, v26, v6
	v_perm_b32 v20, v16, v2, s4
	v_cndmask_b32_e32 v1, v1, v24, vcc
	v_cmp_lt_u16_e32 vcc, v26, v6
	v_cmp_lt_u16_e64 s[0:1], v16, v12
	v_min_u16_e32 v18, v16, v12
	v_max_u16_e32 v25, v14, v5
	v_cndmask_b32_e32 v0, v0, v8, vcc
	v_perm_b32 v5, v10, v13, s4
	v_cndmask_b32_e64 v2, v2, v20, s[0:1]
	v_cndmask_b32_e64 v3, v3, v22, s[0:1]
	v_cmp_lt_u16_e64 s[0:1], v13, v10
	v_perm_b32 v27, v11, v18, s4
	v_cndmask_b32_e64 v0, v0, v5, s[0:1]
	v_cmp_lt_u16_e64 s[0:1], v18, v11
	v_max_u16_e32 v17, v16, v12
	v_min_u16_e32 v29, v18, v11
	v_max_u16_e32 v9, v26, v6
	v_bfi_b32 v6, s5, v6, v1
	v_cndmask_b32_e64 v2, v2, v27, s[0:1]
	v_max_u16_e32 v28, v18, v11
	v_perm_b32 v30, v17, v15, s4
	v_cmp_gt_u16_e64 s[0:1], v12, v15
	v_cndmask_b32_e32 v1, v1, v6, vcc
	v_bfi_b32 v11, s5, v25, v2
	v_cmp_lt_u16_e32 vcc, v29, v25
	v_min_u16_e32 v8, v13, v10
	v_max_u16_e32 v14, v13, v10
	v_cndmask_b32_e64 v3, v3, v30, s[0:1]
	v_cndmask_b32_e64 v10, v17, v15, s[0:1]
	v_perm_b32 v6, v29, v1, s4
	v_cndmask_b32_e32 v2, v2, v11, vcc
	v_min_u16_e32 v19, v29, v25
	v_bfi_b32 v12, s5, v28, v3
	v_cndmask_b32_e32 v1, v1, v6, vcc
	v_perm_b32 v6, v10, v2, s4
	v_cmp_lt_u16_e32 vcc, v10, v28
	v_max_u16_e32 v7, v29, v25
	v_perm_b32 v21, v9, v19, s4
	v_cndmask_b32_e64 v5, v15, v17, s[0:1]
	v_min_u16_e32 v15, v10, v28
	v_cndmask_b32_e32 v2, v2, v6, vcc
	v_cndmask_b32_e32 v3, v3, v12, vcc
	v_cmp_lt_u16_e32 vcc, v19, v9
	v_max_u16_e32 v13, v10, v28
	v_cndmask_b32_e32 v1, v1, v21, vcc
	v_perm_b32 v10, v7, v15, s4
	v_cmp_lt_u16_e32 vcc, v15, v7
	v_max_u16_e32 v6, v19, v9
	v_min_u16_e32 v9, v19, v9
	v_cndmask_b32_e32 v2, v2, v10, vcc
	v_perm_b32 v11, v13, v5, s4
	v_cmp_lt_u16_e32 vcc, v5, v13
	v_max_u16_e32 v10, v15, v7
	v_min_u16_e32 v7, v15, v7
	v_cndmask_b32_e32 v3, v3, v11, vcc
	v_max_u16_e32 v11, v5, v13
	v_min_u16_e32 v5, v5, v13
	v_perm_b32 v12, v9, v0, s4
	v_bfi_b32 v13, s5, v14, v1
	v_cmp_lt_u16_e32 vcc, v9, v14
	v_cndmask_b32_e32 v1, v1, v13, vcc
	v_cndmask_b32_e32 v0, v0, v12, vcc
	v_bfi_b32 v15, s5, v6, v2
	v_cmp_lt_u16_e32 vcc, v7, v6
	v_max_u16_e32 v12, v9, v14
	v_min_u16_e32 v13, v9, v14
	v_perm_b32 v14, v7, v1, s4
	v_cndmask_b32_e32 v2, v2, v15, vcc
	v_cndmask_b32_e32 v1, v1, v14, vcc
	v_max_u16_e32 v14, v7, v6
	v_min_u16_e32 v6, v7, v6
	v_perm_b32 v7, v5, v2, s4
	v_bfi_b32 v15, s5, v10, v3
	v_cmp_lt_u16_e32 vcc, v5, v10
	v_cndmask_b32_e32 v2, v2, v7, vcc
	v_cndmask_b32_e32 v3, v3, v15, vcc
	v_perm_b32 v15, v8, v13, s4
	v_cmp_lt_u16_e32 vcc, v9, v8
	v_max_u16_e32 v7, v5, v10
	v_min_u16_e32 v5, v5, v10
	v_cndmask_b32_e32 v0, v0, v15, vcc
	v_cndmask_b32_e32 v8, v13, v8, vcc
	v_perm_b32 v9, v12, v6, s4
	v_cmp_lt_u16_e32 vcc, v6, v12
	v_cndmask_b32_e32 v1, v1, v9, vcc
	v_max_u16_e32 v9, v6, v12
	v_min_u16_e32 v6, v6, v12
	v_perm_b32 v12, v14, v5, s4
	v_cmp_lt_u16_e32 vcc, v5, v14
	v_cndmask_b32_e32 v2, v2, v12, vcc
	v_perm_b32 v13, v7, v11, s4
	v_cmp_gt_u16_e32 vcc, v10, v11
	v_max_u16_e32 v12, v5, v14
	v_min_u16_e32 v5, v5, v14
	v_cndmask_b32_e32 v3, v3, v13, vcc
	v_cndmask_b32_e32 v7, v7, v11, vcc
	v_perm_b32 v10, v6, v0, s4
	v_bfi_b32 v11, s5, v8, v1
	v_cmp_lt_u16_e32 vcc, v6, v8
	v_cndmask_b32_e32 v1, v1, v11, vcc
	v_cndmask_b32_e32 v0, v0, v10, vcc
	v_bfi_b32 v8, s5, v9, v2
	v_cmp_lt_u16_e32 vcc, v5, v9
	v_perm_b32 v6, v5, v1, s4
	v_cndmask_b32_e32 v2, v2, v8, vcc
	v_cndmask_b32_e32 v1, v1, v6, vcc
	v_perm_b32 v5, v7, v2, s4
	v_bfi_b32 v6, s5, v12, v3
	v_cmp_lt_u16_e32 vcc, v7, v12
	v_cndmask_b32_e32 v2, v2, v5, vcc
	v_cndmask_b32_e32 v3, v3, v6, vcc
	global_store_dwordx4 v4, v[0:3], s[2:3]
	s_endpgm
	.section	.rodata,"a",@progbits
	.p2align	6, 0x0
	.amdhsa_kernel _Z9sort_keysILj256ELj8EtN10test_utils4lessEEvPT1_T2_
		.amdhsa_group_segment_fixed_size 0
		.amdhsa_private_segment_fixed_size 0
		.amdhsa_kernarg_size 12
		.amdhsa_user_sgpr_count 6
		.amdhsa_user_sgpr_private_segment_buffer 1
		.amdhsa_user_sgpr_dispatch_ptr 0
		.amdhsa_user_sgpr_queue_ptr 0
		.amdhsa_user_sgpr_kernarg_segment_ptr 1
		.amdhsa_user_sgpr_dispatch_id 0
		.amdhsa_user_sgpr_flat_scratch_init 0
		.amdhsa_user_sgpr_kernarg_preload_length 0
		.amdhsa_user_sgpr_kernarg_preload_offset 0
		.amdhsa_user_sgpr_private_segment_size 0
		.amdhsa_uses_dynamic_stack 0
		.amdhsa_system_sgpr_private_segment_wavefront_offset 0
		.amdhsa_system_sgpr_workgroup_id_x 1
		.amdhsa_system_sgpr_workgroup_id_y 0
		.amdhsa_system_sgpr_workgroup_id_z 0
		.amdhsa_system_sgpr_workgroup_info 0
		.amdhsa_system_vgpr_workitem_id 0
		.amdhsa_next_free_vgpr 31
		.amdhsa_next_free_sgpr 7
		.amdhsa_accum_offset 32
		.amdhsa_reserve_vcc 1
		.amdhsa_reserve_flat_scratch 0
		.amdhsa_float_round_mode_32 0
		.amdhsa_float_round_mode_16_64 0
		.amdhsa_float_denorm_mode_32 3
		.amdhsa_float_denorm_mode_16_64 3
		.amdhsa_dx10_clamp 1
		.amdhsa_ieee_mode 1
		.amdhsa_fp16_overflow 0
		.amdhsa_tg_split 0
		.amdhsa_exception_fp_ieee_invalid_op 0
		.amdhsa_exception_fp_denorm_src 0
		.amdhsa_exception_fp_ieee_div_zero 0
		.amdhsa_exception_fp_ieee_overflow 0
		.amdhsa_exception_fp_ieee_underflow 0
		.amdhsa_exception_fp_ieee_inexact 0
		.amdhsa_exception_int_div_zero 0
	.end_amdhsa_kernel
	.section	.text._Z9sort_keysILj256ELj8EtN10test_utils4lessEEvPT1_T2_,"axG",@progbits,_Z9sort_keysILj256ELj8EtN10test_utils4lessEEvPT1_T2_,comdat
.Lfunc_end6:
	.size	_Z9sort_keysILj256ELj8EtN10test_utils4lessEEvPT1_T2_, .Lfunc_end6-_Z9sort_keysILj256ELj8EtN10test_utils4lessEEvPT1_T2_
                                        ; -- End function
	.section	.AMDGPU.csdata,"",@progbits
; Kernel info:
; codeLenInByte = 952
; NumSgprs: 11
; NumVgprs: 31
; NumAgprs: 0
; TotalNumVgprs: 31
; ScratchSize: 0
; MemoryBound: 0
; FloatMode: 240
; IeeeMode: 1
; LDSByteSize: 0 bytes/workgroup (compile time only)
; SGPRBlocks: 1
; VGPRBlocks: 3
; NumSGPRsForWavesPerEU: 11
; NumVGPRsForWavesPerEU: 31
; AccumOffset: 32
; Occupancy: 8
; WaveLimiterHint : 0
; COMPUTE_PGM_RSRC2:SCRATCH_EN: 0
; COMPUTE_PGM_RSRC2:USER_SGPR: 6
; COMPUTE_PGM_RSRC2:TRAP_HANDLER: 0
; COMPUTE_PGM_RSRC2:TGID_X_EN: 1
; COMPUTE_PGM_RSRC2:TGID_Y_EN: 0
; COMPUTE_PGM_RSRC2:TGID_Z_EN: 0
; COMPUTE_PGM_RSRC2:TIDIG_COMP_CNT: 0
; COMPUTE_PGM_RSRC3_GFX90A:ACCUM_OFFSET: 7
; COMPUTE_PGM_RSRC3_GFX90A:TG_SPLIT: 0
	.section	.text._Z9sort_keysILj256ELj7EiN10test_utils4lessEEvPT1_T2_,"axG",@progbits,_Z9sort_keysILj256ELj7EiN10test_utils4lessEEvPT1_T2_,comdat
	.protected	_Z9sort_keysILj256ELj7EiN10test_utils4lessEEvPT1_T2_ ; -- Begin function _Z9sort_keysILj256ELj7EiN10test_utils4lessEEvPT1_T2_
	.globl	_Z9sort_keysILj256ELj7EiN10test_utils4lessEEvPT1_T2_
	.p2align	8
	.type	_Z9sort_keysILj256ELj7EiN10test_utils4lessEEvPT1_T2_,@function
_Z9sort_keysILj256ELj7EiN10test_utils4lessEEvPT1_T2_: ; @_Z9sort_keysILj256ELj7EiN10test_utils4lessEEvPT1_T2_
; %bb.0:
	s_load_dwordx2 s[0:1], s[4:5], 0x0
	s_mul_i32 s2, s6, 0x700
	s_mov_b32 s3, 0
	s_lshl_b64 s[2:3], s[2:3], 2
	v_mul_u32_u24_e32 v0, 7, v0
	s_waitcnt lgkmcnt(0)
	s_add_u32 s4, s0, s2
	s_addc_u32 s5, s1, s3
	v_lshlrev_b32_e32 v7, 2, v0
	global_load_dwordx4 v[0:3], v7, s[4:5]
	global_load_dwordx3 v[4:6], v7, s[4:5] offset:16
	s_waitcnt vmcnt(1)
	v_cmp_lt_i32_e32 vcc, v1, v0
	v_max_i32_e32 v10, v1, v0
	v_cmp_lt_i32_e64 s[0:1], v3, v2
	v_min_i32_e32 v13, v3, v2
	s_waitcnt vmcnt(0)
	v_cmp_lt_i32_e64 s[2:3], v5, v4
	v_max_i32_e32 v15, v5, v4
	v_cndmask_b32_e32 v8, v0, v1, vcc
	v_min_i32_e32 v9, v1, v0
	v_cndmask_b32_e64 v11, v3, v2, s[0:1]
	v_max_i32_e32 v12, v3, v2
	v_cndmask_b32_e64 v14, v5, v4, s[2:3]
	v_min_i32_e32 v16, v5, v4
	v_cndmask_b32_e32 v0, v1, v0, vcc
	v_cndmask_b32_e64 v1, v2, v3, s[0:1]
	v_cmp_lt_i32_e32 vcc, v6, v15
	v_cmp_lt_i32_e64 s[0:1], v13, v10
	v_cndmask_b32_e64 v2, v4, v5, s[2:3]
	v_max_i32_e32 v3, v13, v10
	v_min_i32_e32 v4, v13, v10
	v_min_i32_e32 v17, v16, v12
	v_cndmask_b32_e32 v18, v6, v15, vcc
	v_max_i32_e32 v19, v6, v15
	v_min_i32_e32 v15, v6, v15
	v_cndmask_b32_e64 v1, v1, v10, s[0:1]
	v_cndmask_b32_e64 v0, v0, v13, s[0:1]
	v_cmp_lt_i32_e64 s[0:1], v16, v12
	v_cndmask_b32_e32 v6, v14, v6, vcc
	v_cmp_lt_i32_e32 vcc, v13, v9
	v_max_i32_e32 v5, v16, v12
	v_cndmask_b32_e64 v10, v11, v16, s[0:1]
	v_cndmask_b32_e32 v8, v8, v4, vcc
	v_cndmask_b32_e32 v11, v9, v4, vcc
	;; [unrolled: 1-line block ×4, first 2 shown]
	v_cmp_lt_i32_e32 vcc, v17, v3
	v_cndmask_b32_e64 v2, v2, v12, s[0:1]
	v_max_i32_e32 v12, v17, v3
	v_min_i32_e32 v13, v17, v3
	v_cndmask_b32_e32 v3, v10, v3, vcc
	v_cndmask_b32_e32 v1, v1, v17, vcc
	v_cmp_lt_i32_e32 vcc, v15, v5
	v_max_i32_e32 v14, v15, v5
	v_min_i32_e32 v16, v15, v5
	v_cndmask_b32_e32 v6, v6, v5, vcc
	v_cndmask_b32_e32 v2, v2, v15, vcc
	v_min_i32_e32 v10, v13, v4
	v_cmp_gt_i32_e32 vcc, v5, v19
	v_cmp_lt_i32_e64 s[0:1], v13, v4
	v_max_i32_e32 v9, v13, v4
	v_min_i32_e32 v17, v16, v12
	v_cndmask_b32_e32 v5, v18, v14, vcc
	v_cndmask_b32_e32 v18, v19, v14, vcc
	v_cndmask_b32_e32 v14, v14, v19, vcc
	v_cndmask_b32_e64 v1, v1, v4, s[0:1]
	v_cndmask_b32_e64 v0, v0, v13, s[0:1]
	v_cmp_lt_i32_e64 s[0:1], v16, v12
	v_cndmask_b32_e32 v4, v6, v19, vcc
	v_cmp_lt_i32_e32 vcc, v10, v11
	v_max_i32_e32 v15, v16, v12
	v_cndmask_b32_e64 v3, v3, v16, s[0:1]
	v_cndmask_b32_e32 v8, v8, v10, vcc
	v_cndmask_b32_e32 v0, v0, v11, vcc
	v_cmp_lt_i32_e32 vcc, v17, v9
	v_cndmask_b32_e64 v2, v2, v12, s[0:1]
	v_max_i32_e32 v6, v10, v11
	v_min_i32_e32 v13, v17, v9
	v_cndmask_b32_e32 v3, v3, v9, vcc
	v_cndmask_b32_e32 v1, v1, v17, vcc
	v_cmp_lt_i32_e32 vcc, v14, v15
	v_min_i32_e32 v12, v10, v11
	v_max_i32_e32 v10, v17, v9
	v_min_i32_e32 v19, v14, v15
	v_cndmask_b32_e32 v4, v4, v15, vcc
	v_cndmask_b32_e32 v2, v2, v14, vcc
	v_cmp_lt_i32_e32 vcc, v13, v6
	v_max_i32_e32 v16, v14, v15
	v_cndmask_b32_e32 v14, v1, v6, vcc
	v_cndmask_b32_e32 v1, v0, v13, vcc
	v_cmp_lt_i32_e32 vcc, v19, v10
	v_cndmask_b32_e32 v15, v2, v10, vcc
	v_cndmask_b32_e32 v2, v3, v19, vcc
	v_cmp_lt_i32_e32 vcc, v18, v16
	v_max_i32_e32 v9, v13, v6
	v_min_i32_e32 v11, v13, v6
	v_max_i32_e32 v17, v19, v10
	v_min_i32_e32 v10, v19, v10
	v_cndmask_b32_e32 v6, v5, v16, vcc
	v_cndmask_b32_e32 v4, v4, v18, vcc
	v_cmp_lt_i32_e32 vcc, v13, v12
	v_min_i32_e32 v16, v18, v16
	v_cndmask_b32_e32 v0, v8, v11, vcc
	v_cndmask_b32_e32 v1, v1, v12, vcc
	v_cmp_lt_i32_e32 vcc, v10, v9
	v_cndmask_b32_e32 v3, v2, v9, vcc
	v_cndmask_b32_e32 v2, v14, v10, vcc
	v_cmp_lt_i32_e32 vcc, v16, v17
	v_cndmask_b32_e32 v5, v4, v17, vcc
	v_cndmask_b32_e32 v4, v15, v16, vcc
	global_store_dwordx4 v7, v[0:3], s[4:5]
	global_store_dwordx3 v7, v[4:6], s[4:5] offset:16
	s_endpgm
	.section	.rodata,"a",@progbits
	.p2align	6, 0x0
	.amdhsa_kernel _Z9sort_keysILj256ELj7EiN10test_utils4lessEEvPT1_T2_
		.amdhsa_group_segment_fixed_size 0
		.amdhsa_private_segment_fixed_size 0
		.amdhsa_kernarg_size 12
		.amdhsa_user_sgpr_count 6
		.amdhsa_user_sgpr_private_segment_buffer 1
		.amdhsa_user_sgpr_dispatch_ptr 0
		.amdhsa_user_sgpr_queue_ptr 0
		.amdhsa_user_sgpr_kernarg_segment_ptr 1
		.amdhsa_user_sgpr_dispatch_id 0
		.amdhsa_user_sgpr_flat_scratch_init 0
		.amdhsa_user_sgpr_kernarg_preload_length 0
		.amdhsa_user_sgpr_kernarg_preload_offset 0
		.amdhsa_user_sgpr_private_segment_size 0
		.amdhsa_uses_dynamic_stack 0
		.amdhsa_system_sgpr_private_segment_wavefront_offset 0
		.amdhsa_system_sgpr_workgroup_id_x 1
		.amdhsa_system_sgpr_workgroup_id_y 0
		.amdhsa_system_sgpr_workgroup_id_z 0
		.amdhsa_system_sgpr_workgroup_info 0
		.amdhsa_system_vgpr_workitem_id 0
		.amdhsa_next_free_vgpr 20
		.amdhsa_next_free_sgpr 7
		.amdhsa_accum_offset 20
		.amdhsa_reserve_vcc 1
		.amdhsa_reserve_flat_scratch 0
		.amdhsa_float_round_mode_32 0
		.amdhsa_float_round_mode_16_64 0
		.amdhsa_float_denorm_mode_32 3
		.amdhsa_float_denorm_mode_16_64 3
		.amdhsa_dx10_clamp 1
		.amdhsa_ieee_mode 1
		.amdhsa_fp16_overflow 0
		.amdhsa_tg_split 0
		.amdhsa_exception_fp_ieee_invalid_op 0
		.amdhsa_exception_fp_denorm_src 0
		.amdhsa_exception_fp_ieee_div_zero 0
		.amdhsa_exception_fp_ieee_overflow 0
		.amdhsa_exception_fp_ieee_underflow 0
		.amdhsa_exception_fp_ieee_inexact 0
		.amdhsa_exception_int_div_zero 0
	.end_amdhsa_kernel
	.section	.text._Z9sort_keysILj256ELj7EiN10test_utils4lessEEvPT1_T2_,"axG",@progbits,_Z9sort_keysILj256ELj7EiN10test_utils4lessEEvPT1_T2_,comdat
.Lfunc_end7:
	.size	_Z9sort_keysILj256ELj7EiN10test_utils4lessEEvPT1_T2_, .Lfunc_end7-_Z9sort_keysILj256ELj7EiN10test_utils4lessEEvPT1_T2_
                                        ; -- End function
	.section	.AMDGPU.csdata,"",@progbits
; Kernel info:
; codeLenInByte = 552
; NumSgprs: 11
; NumVgprs: 20
; NumAgprs: 0
; TotalNumVgprs: 20
; ScratchSize: 0
; MemoryBound: 0
; FloatMode: 240
; IeeeMode: 1
; LDSByteSize: 0 bytes/workgroup (compile time only)
; SGPRBlocks: 1
; VGPRBlocks: 2
; NumSGPRsForWavesPerEU: 11
; NumVGPRsForWavesPerEU: 20
; AccumOffset: 20
; Occupancy: 8
; WaveLimiterHint : 0
; COMPUTE_PGM_RSRC2:SCRATCH_EN: 0
; COMPUTE_PGM_RSRC2:USER_SGPR: 6
; COMPUTE_PGM_RSRC2:TRAP_HANDLER: 0
; COMPUTE_PGM_RSRC2:TGID_X_EN: 1
; COMPUTE_PGM_RSRC2:TGID_Y_EN: 0
; COMPUTE_PGM_RSRC2:TGID_Z_EN: 0
; COMPUTE_PGM_RSRC2:TIDIG_COMP_CNT: 0
; COMPUTE_PGM_RSRC3_GFX90A:ACCUM_OFFSET: 4
; COMPUTE_PGM_RSRC3_GFX90A:TG_SPLIT: 0
	.section	.text._Z9sort_keysILj256ELj6EfN10test_utils7greaterEEvPT1_T2_,"axG",@progbits,_Z9sort_keysILj256ELj6EfN10test_utils7greaterEEvPT1_T2_,comdat
	.protected	_Z9sort_keysILj256ELj6EfN10test_utils7greaterEEvPT1_T2_ ; -- Begin function _Z9sort_keysILj256ELj6EfN10test_utils7greaterEEvPT1_T2_
	.globl	_Z9sort_keysILj256ELj6EfN10test_utils7greaterEEvPT1_T2_
	.p2align	8
	.type	_Z9sort_keysILj256ELj6EfN10test_utils7greaterEEvPT1_T2_,@function
_Z9sort_keysILj256ELj6EfN10test_utils7greaterEEvPT1_T2_: ; @_Z9sort_keysILj256ELj6EfN10test_utils7greaterEEvPT1_T2_
; %bb.0:
	s_load_dwordx2 s[0:1], s[4:5], 0x0
	s_mul_i32 s2, s6, 0x600
	s_mov_b32 s3, 0
	s_lshl_b64 s[2:3], s[2:3], 2
	v_mul_u32_u24_e32 v0, 6, v0
	s_waitcnt lgkmcnt(0)
	s_add_u32 s4, s0, s2
	s_addc_u32 s5, s1, s3
	v_lshlrev_b32_e32 v6, 2, v0
	global_load_dwordx4 v[0:3], v6, s[4:5]
	global_load_dwordx2 v[4:5], v6, s[4:5] offset:16
	s_waitcnt vmcnt(1)
	v_cmp_gt_f32_e32 vcc, v1, v0
	v_cmp_gt_f32_e64 s[0:1], v3, v2
	s_waitcnt vmcnt(0)
	v_cmp_gt_f32_e64 s[2:3], v5, v4
	v_cndmask_b32_e32 v7, v0, v1, vcc
	v_cndmask_b32_e64 v8, v3, v2, s[0:1]
	v_cndmask_b32_e32 v0, v1, v0, vcc
	v_cndmask_b32_e64 v1, v2, v3, s[0:1]
	v_cndmask_b32_e64 v2, v4, v5, s[2:3]
	v_cmp_gt_f32_e32 vcc, v1, v0
	v_cmp_gt_f32_e64 s[0:1], v2, v8
	v_cndmask_b32_e64 v9, v5, v4, s[2:3]
	v_cndmask_b32_e32 v3, v1, v0, vcc
	v_cndmask_b32_e64 v4, v2, v8, s[0:1]
	v_cndmask_b32_e32 v0, v0, v1, vcc
	v_cndmask_b32_e64 v1, v8, v2, s[0:1]
	v_cmp_gt_f32_e32 vcc, v9, v4
	v_cmp_gt_f32_e64 s[2:3], v1, v3
	v_cndmask_b32_e32 v2, v9, v4, vcc
	v_cmp_gt_f32_e64 s[0:1], v0, v7
	v_cndmask_b32_e64 v5, v1, v3, s[2:3]
	v_cndmask_b32_e32 v4, v4, v9, vcc
	v_cndmask_b32_e64 v8, v7, v0, s[0:1]
	v_cndmask_b32_e64 v0, v0, v7, s[0:1]
	;; [unrolled: 1-line block ×3, first 2 shown]
	v_cmp_gt_f32_e32 vcc, v4, v5
	v_cndmask_b32_e32 v3, v4, v5, vcc
	v_cmp_gt_f32_e64 s[0:1], v1, v0
	v_cndmask_b32_e64 v7, v1, v0, s[0:1]
	v_cndmask_b32_e32 v4, v5, v4, vcc
	v_cmp_gt_f32_e32 vcc, v2, v3
	v_cndmask_b32_e64 v1, v0, v1, s[0:1]
	v_cndmask_b32_e32 v5, v2, v3, vcc
	v_cmp_gt_f32_e64 s[0:1], v4, v7
	v_cndmask_b32_e32 v2, v3, v2, vcc
	v_cmp_gt_f32_e32 vcc, v1, v8
	v_cndmask_b32_e64 v9, v4, v7, s[0:1]
	v_cndmask_b32_e32 v0, v8, v1, vcc
	v_cndmask_b32_e64 v7, v7, v4, s[0:1]
	v_cndmask_b32_e32 v1, v1, v8, vcc
	v_cmp_gt_f32_e64 s[0:1], v2, v9
	v_cmp_gt_f32_e32 vcc, v7, v1
	v_cndmask_b32_e64 v4, v2, v9, s[0:1]
	v_cndmask_b32_e64 v3, v9, v2, s[0:1]
	v_cndmask_b32_e32 v2, v7, v1, vcc
	v_cndmask_b32_e32 v1, v1, v7, vcc
	global_store_dwordx4 v6, v[0:3], s[4:5]
	global_store_dwordx2 v6, v[4:5], s[4:5] offset:16
	s_endpgm
	.section	.rodata,"a",@progbits
	.p2align	6, 0x0
	.amdhsa_kernel _Z9sort_keysILj256ELj6EfN10test_utils7greaterEEvPT1_T2_
		.amdhsa_group_segment_fixed_size 0
		.amdhsa_private_segment_fixed_size 0
		.amdhsa_kernarg_size 12
		.amdhsa_user_sgpr_count 6
		.amdhsa_user_sgpr_private_segment_buffer 1
		.amdhsa_user_sgpr_dispatch_ptr 0
		.amdhsa_user_sgpr_queue_ptr 0
		.amdhsa_user_sgpr_kernarg_segment_ptr 1
		.amdhsa_user_sgpr_dispatch_id 0
		.amdhsa_user_sgpr_flat_scratch_init 0
		.amdhsa_user_sgpr_kernarg_preload_length 0
		.amdhsa_user_sgpr_kernarg_preload_offset 0
		.amdhsa_user_sgpr_private_segment_size 0
		.amdhsa_uses_dynamic_stack 0
		.amdhsa_system_sgpr_private_segment_wavefront_offset 0
		.amdhsa_system_sgpr_workgroup_id_x 1
		.amdhsa_system_sgpr_workgroup_id_y 0
		.amdhsa_system_sgpr_workgroup_id_z 0
		.amdhsa_system_sgpr_workgroup_info 0
		.amdhsa_system_vgpr_workitem_id 0
		.amdhsa_next_free_vgpr 10
		.amdhsa_next_free_sgpr 7
		.amdhsa_accum_offset 12
		.amdhsa_reserve_vcc 1
		.amdhsa_reserve_flat_scratch 0
		.amdhsa_float_round_mode_32 0
		.amdhsa_float_round_mode_16_64 0
		.amdhsa_float_denorm_mode_32 3
		.amdhsa_float_denorm_mode_16_64 3
		.amdhsa_dx10_clamp 1
		.amdhsa_ieee_mode 1
		.amdhsa_fp16_overflow 0
		.amdhsa_tg_split 0
		.amdhsa_exception_fp_ieee_invalid_op 0
		.amdhsa_exception_fp_denorm_src 0
		.amdhsa_exception_fp_ieee_div_zero 0
		.amdhsa_exception_fp_ieee_overflow 0
		.amdhsa_exception_fp_ieee_underflow 0
		.amdhsa_exception_fp_ieee_inexact 0
		.amdhsa_exception_int_div_zero 0
	.end_amdhsa_kernel
	.section	.text._Z9sort_keysILj256ELj6EfN10test_utils7greaterEEvPT1_T2_,"axG",@progbits,_Z9sort_keysILj256ELj6EfN10test_utils7greaterEEvPT1_T2_,comdat
.Lfunc_end8:
	.size	_Z9sort_keysILj256ELj6EfN10test_utils7greaterEEvPT1_T2_, .Lfunc_end8-_Z9sort_keysILj256ELj6EfN10test_utils7greaterEEvPT1_T2_
                                        ; -- End function
	.section	.AMDGPU.csdata,"",@progbits
; Kernel info:
; codeLenInByte = 364
; NumSgprs: 11
; NumVgprs: 10
; NumAgprs: 0
; TotalNumVgprs: 10
; ScratchSize: 0
; MemoryBound: 0
; FloatMode: 240
; IeeeMode: 1
; LDSByteSize: 0 bytes/workgroup (compile time only)
; SGPRBlocks: 1
; VGPRBlocks: 1
; NumSGPRsForWavesPerEU: 11
; NumVGPRsForWavesPerEU: 10
; AccumOffset: 12
; Occupancy: 8
; WaveLimiterHint : 0
; COMPUTE_PGM_RSRC2:SCRATCH_EN: 0
; COMPUTE_PGM_RSRC2:USER_SGPR: 6
; COMPUTE_PGM_RSRC2:TRAP_HANDLER: 0
; COMPUTE_PGM_RSRC2:TGID_X_EN: 1
; COMPUTE_PGM_RSRC2:TGID_Y_EN: 0
; COMPUTE_PGM_RSRC2:TGID_Z_EN: 0
; COMPUTE_PGM_RSRC2:TIDIG_COMP_CNT: 0
; COMPUTE_PGM_RSRC3_GFX90A:ACCUM_OFFSET: 2
; COMPUTE_PGM_RSRC3_GFX90A:TG_SPLIT: 0
	.section	.text._Z9sort_keysILj256ELj5EtN10test_utils4lessEEvPT1_T2_,"axG",@progbits,_Z9sort_keysILj256ELj5EtN10test_utils4lessEEvPT1_T2_,comdat
	.protected	_Z9sort_keysILj256ELj5EtN10test_utils4lessEEvPT1_T2_ ; -- Begin function _Z9sort_keysILj256ELj5EtN10test_utils4lessEEvPT1_T2_
	.globl	_Z9sort_keysILj256ELj5EtN10test_utils4lessEEvPT1_T2_
	.p2align	8
	.type	_Z9sort_keysILj256ELj5EtN10test_utils4lessEEvPT1_T2_,@function
_Z9sort_keysILj256ELj5EtN10test_utils4lessEEvPT1_T2_: ; @_Z9sort_keysILj256ELj5EtN10test_utils4lessEEvPT1_T2_
; %bb.0:
	s_load_dwordx2 s[0:1], s[4:5], 0x0
	s_mul_i32 s2, s6, 0x500
	s_mov_b32 s3, 0
	s_lshl_b64 s[2:3], s[2:3], 1
	v_mul_u32_u24_e32 v0, 5, v0
	s_waitcnt lgkmcnt(0)
	s_add_u32 s0, s0, s2
	s_addc_u32 s1, s1, s3
	v_lshlrev_b32_e32 v2, 1, v0
	global_load_dwordx2 v[0:1], v2, s[0:1]
	global_load_ushort v3, v2, s[0:1] offset:8
	s_mov_b32 s2, 0x5040100
	s_mov_b32 s3, 0xffff
	s_waitcnt vmcnt(1)
	v_alignbit_b32 v4, v0, v0, 16
	v_cmp_lt_u16_sdwa vcc, v0, v0 src0_sel:WORD_1 src1_sel:DWORD
	v_min_u16_sdwa v5, v0, v0 dst_sel:DWORD dst_unused:UNUSED_PAD src0_sel:WORD_1 src1_sel:DWORD
	v_max_u16_sdwa v6, v0, v0 dst_sel:DWORD dst_unused:UNUSED_PAD src0_sel:WORD_1 src1_sel:DWORD
	v_alignbit_b32 v7, v1, v1, 16
	v_cndmask_b32_e32 v0, v0, v4, vcc
	v_cmp_lt_u16_sdwa vcc, v1, v1 src0_sel:WORD_1 src1_sel:DWORD
	v_max_u16_sdwa v8, v1, v1 dst_sel:DWORD dst_unused:UNUSED_PAD src0_sel:WORD_1 src1_sel:DWORD
	v_min_u16_sdwa v9, v1, v1 dst_sel:DWORD dst_unused:UNUSED_PAD src0_sel:WORD_1 src1_sel:DWORD
	v_cndmask_b32_e32 v1, v1, v7, vcc
	v_min_u16_e32 v7, v9, v6
	v_perm_b32 v12, v9, v0, s2
	v_bfi_b32 v13, s3, v6, v1
	v_cmp_lt_u16_e32 vcc, v9, v6
	v_perm_b32 v14, v5, v7, s2
	v_cndmask_b32_e32 v0, v0, v12, vcc
	v_cndmask_b32_e32 v1, v1, v13, vcc
	v_cmp_lt_u16_e32 vcc, v9, v5
	v_max_u16_e32 v4, v9, v6
	s_waitcnt vmcnt(0)
	v_min_u16_e32 v11, v3, v8
	v_perm_b32 v6, v3, v1, s2
	v_cndmask_b32_e32 v0, v0, v14, vcc
	v_cndmask_b32_e32 v9, v5, v7, vcc
	;; [unrolled: 1-line block ×3, first 2 shown]
	v_cmp_lt_u16_e32 vcc, v3, v8
	v_max_u16_e32 v10, v3, v8
	v_perm_b32 v15, v4, v11, s2
	v_cndmask_b32_e32 v1, v1, v6, vcc
	v_cndmask_b32_e32 v3, v3, v8, vcc
	v_cmp_lt_u16_e32 vcc, v11, v4
	v_min_u16_e32 v17, v11, v4
	v_cndmask_b32_e32 v1, v1, v15, vcc
	v_perm_b32 v6, v17, v0, s2
	v_min_u16_e32 v8, v17, v5
	v_bfi_b32 v12, s3, v5, v1
	v_cmp_lt_u16_e32 vcc, v17, v5
	v_max_u16_e32 v16, v11, v4
	v_perm_b32 v11, v9, v8, s2
	v_cndmask_b32_e32 v1, v1, v12, vcc
	v_cndmask_b32_e32 v0, v0, v6, vcc
	v_cmp_lt_u16_e32 vcc, v8, v9
	v_cndmask_b32_e32 v0, v0, v11, vcc
	v_cmp_gt_u16_e32 vcc, v4, v10
	v_max_u16_e32 v7, v17, v5
	v_perm_b32 v5, v10, v1, s2
	v_cndmask_b32_e32 v4, v16, v10, vcc
	v_cndmask_b32_e32 v1, v1, v5, vcc
	;; [unrolled: 1-line block ×3, first 2 shown]
	v_perm_b32 v5, v7, v4, s2
	v_cmp_lt_u16_e32 vcc, v4, v7
	v_cndmask_b32_e32 v1, v1, v5, vcc
	global_store_short v2, v3, s[0:1] offset:8
	global_store_dwordx2 v2, v[0:1], s[0:1]
	s_endpgm
	.section	.rodata,"a",@progbits
	.p2align	6, 0x0
	.amdhsa_kernel _Z9sort_keysILj256ELj5EtN10test_utils4lessEEvPT1_T2_
		.amdhsa_group_segment_fixed_size 0
		.amdhsa_private_segment_fixed_size 0
		.amdhsa_kernarg_size 12
		.amdhsa_user_sgpr_count 6
		.amdhsa_user_sgpr_private_segment_buffer 1
		.amdhsa_user_sgpr_dispatch_ptr 0
		.amdhsa_user_sgpr_queue_ptr 0
		.amdhsa_user_sgpr_kernarg_segment_ptr 1
		.amdhsa_user_sgpr_dispatch_id 0
		.amdhsa_user_sgpr_flat_scratch_init 0
		.amdhsa_user_sgpr_kernarg_preload_length 0
		.amdhsa_user_sgpr_kernarg_preload_offset 0
		.amdhsa_user_sgpr_private_segment_size 0
		.amdhsa_uses_dynamic_stack 0
		.amdhsa_system_sgpr_private_segment_wavefront_offset 0
		.amdhsa_system_sgpr_workgroup_id_x 1
		.amdhsa_system_sgpr_workgroup_id_y 0
		.amdhsa_system_sgpr_workgroup_id_z 0
		.amdhsa_system_sgpr_workgroup_info 0
		.amdhsa_system_vgpr_workitem_id 0
		.amdhsa_next_free_vgpr 18
		.amdhsa_next_free_sgpr 7
		.amdhsa_accum_offset 20
		.amdhsa_reserve_vcc 1
		.amdhsa_reserve_flat_scratch 0
		.amdhsa_float_round_mode_32 0
		.amdhsa_float_round_mode_16_64 0
		.amdhsa_float_denorm_mode_32 3
		.amdhsa_float_denorm_mode_16_64 3
		.amdhsa_dx10_clamp 1
		.amdhsa_ieee_mode 1
		.amdhsa_fp16_overflow 0
		.amdhsa_tg_split 0
		.amdhsa_exception_fp_ieee_invalid_op 0
		.amdhsa_exception_fp_denorm_src 0
		.amdhsa_exception_fp_ieee_div_zero 0
		.amdhsa_exception_fp_ieee_overflow 0
		.amdhsa_exception_fp_ieee_underflow 0
		.amdhsa_exception_fp_ieee_inexact 0
		.amdhsa_exception_int_div_zero 0
	.end_amdhsa_kernel
	.section	.text._Z9sort_keysILj256ELj5EtN10test_utils4lessEEvPT1_T2_,"axG",@progbits,_Z9sort_keysILj256ELj5EtN10test_utils4lessEEvPT1_T2_,comdat
.Lfunc_end9:
	.size	_Z9sort_keysILj256ELj5EtN10test_utils4lessEEvPT1_T2_, .Lfunc_end9-_Z9sort_keysILj256ELj5EtN10test_utils4lessEEvPT1_T2_
                                        ; -- End function
	.section	.AMDGPU.csdata,"",@progbits
; Kernel info:
; codeLenInByte = 380
; NumSgprs: 11
; NumVgprs: 18
; NumAgprs: 0
; TotalNumVgprs: 18
; ScratchSize: 0
; MemoryBound: 0
; FloatMode: 240
; IeeeMode: 1
; LDSByteSize: 0 bytes/workgroup (compile time only)
; SGPRBlocks: 1
; VGPRBlocks: 2
; NumSGPRsForWavesPerEU: 11
; NumVGPRsForWavesPerEU: 18
; AccumOffset: 20
; Occupancy: 8
; WaveLimiterHint : 0
; COMPUTE_PGM_RSRC2:SCRATCH_EN: 0
; COMPUTE_PGM_RSRC2:USER_SGPR: 6
; COMPUTE_PGM_RSRC2:TRAP_HANDLER: 0
; COMPUTE_PGM_RSRC2:TGID_X_EN: 1
; COMPUTE_PGM_RSRC2:TGID_Y_EN: 0
; COMPUTE_PGM_RSRC2:TGID_Z_EN: 0
; COMPUTE_PGM_RSRC2:TIDIG_COMP_CNT: 0
; COMPUTE_PGM_RSRC3_GFX90A:ACCUM_OFFSET: 4
; COMPUTE_PGM_RSRC3_GFX90A:TG_SPLIT: 0
	.section	.text._Z9sort_keysILj256ELj4EjN10test_utils4lessEEvPT1_T2_,"axG",@progbits,_Z9sort_keysILj256ELj4EjN10test_utils4lessEEvPT1_T2_,comdat
	.protected	_Z9sort_keysILj256ELj4EjN10test_utils4lessEEvPT1_T2_ ; -- Begin function _Z9sort_keysILj256ELj4EjN10test_utils4lessEEvPT1_T2_
	.globl	_Z9sort_keysILj256ELj4EjN10test_utils4lessEEvPT1_T2_
	.p2align	8
	.type	_Z9sort_keysILj256ELj4EjN10test_utils4lessEEvPT1_T2_,@function
_Z9sort_keysILj256ELj4EjN10test_utils4lessEEvPT1_T2_: ; @_Z9sort_keysILj256ELj4EjN10test_utils4lessEEvPT1_T2_
; %bb.0:
	s_load_dwordx2 s[0:1], s[4:5], 0x0
	s_lshl_b32 s2, s6, 10
	s_mov_b32 s3, 0
	s_lshl_b64 s[2:3], s[2:3], 2
	v_lshlrev_b32_e32 v4, 4, v0
	s_waitcnt lgkmcnt(0)
	s_add_u32 s2, s0, s2
	s_addc_u32 s3, s1, s3
	global_load_dwordx4 v[0:3], v4, s[2:3]
	s_waitcnt vmcnt(0)
	v_cmp_lt_u32_e32 vcc, v1, v0
	v_max_u32_e32 v7, v1, v0
	v_cmp_lt_u32_e64 s[0:1], v3, v2
	v_min_u32_e32 v10, v3, v2
	v_cndmask_b32_e32 v5, v0, v1, vcc
	v_min_u32_e32 v6, v1, v0
	v_max_u32_e32 v9, v3, v2
	v_cndmask_b32_e32 v0, v1, v0, vcc
	v_cndmask_b32_e64 v1, v2, v3, s[0:1]
	v_cmp_lt_u32_e32 vcc, v10, v7
	v_cndmask_b32_e64 v8, v3, v2, s[0:1]
	v_max_u32_e32 v2, v10, v7
	v_min_u32_e32 v3, v10, v7
	v_cndmask_b32_e32 v1, v1, v7, vcc
	v_cndmask_b32_e32 v11, v0, v10, vcc
	v_cmp_lt_u32_e32 vcc, v10, v6
	v_cmp_gt_u32_e64 s[0:1], v7, v9
	v_cndmask_b32_e32 v0, v5, v3, vcc
	v_cndmask_b32_e32 v5, v3, v6, vcc
	v_cndmask_b32_e64 v7, v2, v9, s[0:1]
	v_cndmask_b32_e32 v6, v11, v6, vcc
	v_cndmask_b32_e64 v1, v1, v9, s[0:1]
	v_cmp_lt_u32_e32 vcc, v7, v5
	v_cndmask_b32_e64 v3, v8, v2, s[0:1]
	v_cndmask_b32_e32 v2, v1, v5, vcc
	v_cndmask_b32_e32 v1, v6, v7, vcc
	global_store_dwordx4 v4, v[0:3], s[2:3]
	s_endpgm
	.section	.rodata,"a",@progbits
	.p2align	6, 0x0
	.amdhsa_kernel _Z9sort_keysILj256ELj4EjN10test_utils4lessEEvPT1_T2_
		.amdhsa_group_segment_fixed_size 0
		.amdhsa_private_segment_fixed_size 0
		.amdhsa_kernarg_size 12
		.amdhsa_user_sgpr_count 6
		.amdhsa_user_sgpr_private_segment_buffer 1
		.amdhsa_user_sgpr_dispatch_ptr 0
		.amdhsa_user_sgpr_queue_ptr 0
		.amdhsa_user_sgpr_kernarg_segment_ptr 1
		.amdhsa_user_sgpr_dispatch_id 0
		.amdhsa_user_sgpr_flat_scratch_init 0
		.amdhsa_user_sgpr_kernarg_preload_length 0
		.amdhsa_user_sgpr_kernarg_preload_offset 0
		.amdhsa_user_sgpr_private_segment_size 0
		.amdhsa_uses_dynamic_stack 0
		.amdhsa_system_sgpr_private_segment_wavefront_offset 0
		.amdhsa_system_sgpr_workgroup_id_x 1
		.amdhsa_system_sgpr_workgroup_id_y 0
		.amdhsa_system_sgpr_workgroup_id_z 0
		.amdhsa_system_sgpr_workgroup_info 0
		.amdhsa_system_vgpr_workitem_id 0
		.amdhsa_next_free_vgpr 12
		.amdhsa_next_free_sgpr 7
		.amdhsa_accum_offset 12
		.amdhsa_reserve_vcc 1
		.amdhsa_reserve_flat_scratch 0
		.amdhsa_float_round_mode_32 0
		.amdhsa_float_round_mode_16_64 0
		.amdhsa_float_denorm_mode_32 3
		.amdhsa_float_denorm_mode_16_64 3
		.amdhsa_dx10_clamp 1
		.amdhsa_ieee_mode 1
		.amdhsa_fp16_overflow 0
		.amdhsa_tg_split 0
		.amdhsa_exception_fp_ieee_invalid_op 0
		.amdhsa_exception_fp_denorm_src 0
		.amdhsa_exception_fp_ieee_div_zero 0
		.amdhsa_exception_fp_ieee_overflow 0
		.amdhsa_exception_fp_ieee_underflow 0
		.amdhsa_exception_fp_ieee_inexact 0
		.amdhsa_exception_int_div_zero 0
	.end_amdhsa_kernel
	.section	.text._Z9sort_keysILj256ELj4EjN10test_utils4lessEEvPT1_T2_,"axG",@progbits,_Z9sort_keysILj256ELj4EjN10test_utils4lessEEvPT1_T2_,comdat
.Lfunc_end10:
	.size	_Z9sort_keysILj256ELj4EjN10test_utils4lessEEvPT1_T2_, .Lfunc_end10-_Z9sort_keysILj256ELj4EjN10test_utils4lessEEvPT1_T2_
                                        ; -- End function
	.section	.AMDGPU.csdata,"",@progbits
; Kernel info:
; codeLenInByte = 192
; NumSgprs: 11
; NumVgprs: 12
; NumAgprs: 0
; TotalNumVgprs: 12
; ScratchSize: 0
; MemoryBound: 0
; FloatMode: 240
; IeeeMode: 1
; LDSByteSize: 0 bytes/workgroup (compile time only)
; SGPRBlocks: 1
; VGPRBlocks: 1
; NumSGPRsForWavesPerEU: 11
; NumVGPRsForWavesPerEU: 12
; AccumOffset: 12
; Occupancy: 8
; WaveLimiterHint : 0
; COMPUTE_PGM_RSRC2:SCRATCH_EN: 0
; COMPUTE_PGM_RSRC2:USER_SGPR: 6
; COMPUTE_PGM_RSRC2:TRAP_HANDLER: 0
; COMPUTE_PGM_RSRC2:TGID_X_EN: 1
; COMPUTE_PGM_RSRC2:TGID_Y_EN: 0
; COMPUTE_PGM_RSRC2:TGID_Z_EN: 0
; COMPUTE_PGM_RSRC2:TIDIG_COMP_CNT: 0
; COMPUTE_PGM_RSRC3_GFX90A:ACCUM_OFFSET: 2
; COMPUTE_PGM_RSRC3_GFX90A:TG_SPLIT: 0
	.section	.text._Z9sort_keysILj256ELj3EiN10test_utils4lessEEvPT1_T2_,"axG",@progbits,_Z9sort_keysILj256ELj3EiN10test_utils4lessEEvPT1_T2_,comdat
	.protected	_Z9sort_keysILj256ELj3EiN10test_utils4lessEEvPT1_T2_ ; -- Begin function _Z9sort_keysILj256ELj3EiN10test_utils4lessEEvPT1_T2_
	.globl	_Z9sort_keysILj256ELj3EiN10test_utils4lessEEvPT1_T2_
	.p2align	8
	.type	_Z9sort_keysILj256ELj3EiN10test_utils4lessEEvPT1_T2_,@function
_Z9sort_keysILj256ELj3EiN10test_utils4lessEEvPT1_T2_: ; @_Z9sort_keysILj256ELj3EiN10test_utils4lessEEvPT1_T2_
; %bb.0:
	s_load_dwordx2 s[0:1], s[4:5], 0x0
	s_mul_i32 s2, s6, 0x300
	s_mov_b32 s3, 0
	s_lshl_b64 s[2:3], s[2:3], 2
	v_mul_u32_u24_e32 v0, 3, v0
	s_waitcnt lgkmcnt(0)
	s_add_u32 s0, s0, s2
	s_addc_u32 s1, s1, s3
	v_lshlrev_b32_e32 v5, 2, v0
	global_load_dwordx3 v[0:2], v5, s[0:1]
	s_waitcnt vmcnt(0)
	v_cmp_lt_i32_e32 vcc, v1, v0
	v_max_i32_e32 v7, v1, v0
	v_cndmask_b32_e32 v3, v0, v1, vcc
	v_min_i32_e32 v6, v1, v0
	v_cndmask_b32_e32 v0, v1, v0, vcc
	v_cmp_lt_i32_e32 vcc, v2, v7
	v_cndmask_b32_e32 v4, v2, v7, vcc
	v_min_i32_e32 v1, v2, v7
	v_cndmask_b32_e32 v0, v0, v2, vcc
	v_cmp_lt_i32_e32 vcc, v2, v6
	v_cndmask_b32_e32 v2, v3, v1, vcc
	v_cndmask_b32_e32 v3, v0, v6, vcc
	global_store_dwordx3 v5, v[2:4], s[0:1]
	s_endpgm
	.section	.rodata,"a",@progbits
	.p2align	6, 0x0
	.amdhsa_kernel _Z9sort_keysILj256ELj3EiN10test_utils4lessEEvPT1_T2_
		.amdhsa_group_segment_fixed_size 0
		.amdhsa_private_segment_fixed_size 0
		.amdhsa_kernarg_size 12
		.amdhsa_user_sgpr_count 6
		.amdhsa_user_sgpr_private_segment_buffer 1
		.amdhsa_user_sgpr_dispatch_ptr 0
		.amdhsa_user_sgpr_queue_ptr 0
		.amdhsa_user_sgpr_kernarg_segment_ptr 1
		.amdhsa_user_sgpr_dispatch_id 0
		.amdhsa_user_sgpr_flat_scratch_init 0
		.amdhsa_user_sgpr_kernarg_preload_length 0
		.amdhsa_user_sgpr_kernarg_preload_offset 0
		.amdhsa_user_sgpr_private_segment_size 0
		.amdhsa_uses_dynamic_stack 0
		.amdhsa_system_sgpr_private_segment_wavefront_offset 0
		.amdhsa_system_sgpr_workgroup_id_x 1
		.amdhsa_system_sgpr_workgroup_id_y 0
		.amdhsa_system_sgpr_workgroup_id_z 0
		.amdhsa_system_sgpr_workgroup_info 0
		.amdhsa_system_vgpr_workitem_id 0
		.amdhsa_next_free_vgpr 8
		.amdhsa_next_free_sgpr 7
		.amdhsa_accum_offset 8
		.amdhsa_reserve_vcc 1
		.amdhsa_reserve_flat_scratch 0
		.amdhsa_float_round_mode_32 0
		.amdhsa_float_round_mode_16_64 0
		.amdhsa_float_denorm_mode_32 3
		.amdhsa_float_denorm_mode_16_64 3
		.amdhsa_dx10_clamp 1
		.amdhsa_ieee_mode 1
		.amdhsa_fp16_overflow 0
		.amdhsa_tg_split 0
		.amdhsa_exception_fp_ieee_invalid_op 0
		.amdhsa_exception_fp_denorm_src 0
		.amdhsa_exception_fp_ieee_div_zero 0
		.amdhsa_exception_fp_ieee_overflow 0
		.amdhsa_exception_fp_ieee_underflow 0
		.amdhsa_exception_fp_ieee_inexact 0
		.amdhsa_exception_int_div_zero 0
	.end_amdhsa_kernel
	.section	.text._Z9sort_keysILj256ELj3EiN10test_utils4lessEEvPT1_T2_,"axG",@progbits,_Z9sort_keysILj256ELj3EiN10test_utils4lessEEvPT1_T2_,comdat
.Lfunc_end11:
	.size	_Z9sort_keysILj256ELj3EiN10test_utils4lessEEvPT1_T2_, .Lfunc_end11-_Z9sort_keysILj256ELj3EiN10test_utils4lessEEvPT1_T2_
                                        ; -- End function
	.section	.AMDGPU.csdata,"",@progbits
; Kernel info:
; codeLenInByte = 116
; NumSgprs: 11
; NumVgprs: 8
; NumAgprs: 0
; TotalNumVgprs: 8
; ScratchSize: 0
; MemoryBound: 0
; FloatMode: 240
; IeeeMode: 1
; LDSByteSize: 0 bytes/workgroup (compile time only)
; SGPRBlocks: 1
; VGPRBlocks: 0
; NumSGPRsForWavesPerEU: 11
; NumVGPRsForWavesPerEU: 8
; AccumOffset: 8
; Occupancy: 8
; WaveLimiterHint : 0
; COMPUTE_PGM_RSRC2:SCRATCH_EN: 0
; COMPUTE_PGM_RSRC2:USER_SGPR: 6
; COMPUTE_PGM_RSRC2:TRAP_HANDLER: 0
; COMPUTE_PGM_RSRC2:TGID_X_EN: 1
; COMPUTE_PGM_RSRC2:TGID_Y_EN: 0
; COMPUTE_PGM_RSRC2:TGID_Z_EN: 0
; COMPUTE_PGM_RSRC2:TIDIG_COMP_CNT: 0
; COMPUTE_PGM_RSRC3_GFX90A:ACCUM_OFFSET: 1
; COMPUTE_PGM_RSRC3_GFX90A:TG_SPLIT: 0
	.section	.text._Z9sort_keysILj256ELj2EjN10test_utils4lessEEvPT1_T2_,"axG",@progbits,_Z9sort_keysILj256ELj2EjN10test_utils4lessEEvPT1_T2_,comdat
	.protected	_Z9sort_keysILj256ELj2EjN10test_utils4lessEEvPT1_T2_ ; -- Begin function _Z9sort_keysILj256ELj2EjN10test_utils4lessEEvPT1_T2_
	.globl	_Z9sort_keysILj256ELj2EjN10test_utils4lessEEvPT1_T2_
	.p2align	8
	.type	_Z9sort_keysILj256ELj2EjN10test_utils4lessEEvPT1_T2_,@function
_Z9sort_keysILj256ELj2EjN10test_utils4lessEEvPT1_T2_: ; @_Z9sort_keysILj256ELj2EjN10test_utils4lessEEvPT1_T2_
; %bb.0:
	s_load_dwordx2 s[0:1], s[4:5], 0x0
	s_lshl_b32 s2, s6, 9
	s_mov_b32 s3, 0
	s_lshl_b64 s[2:3], s[2:3], 2
	v_lshlrev_b32_e32 v4, 3, v0
	s_waitcnt lgkmcnt(0)
	s_add_u32 s0, s0, s2
	s_addc_u32 s1, s1, s3
	global_load_dwordx2 v[0:1], v4, s[0:1]
	s_waitcnt vmcnt(0)
	v_cmp_lt_u32_e32 vcc, v1, v0
	v_cndmask_b32_e32 v3, v1, v0, vcc
	v_cndmask_b32_e32 v2, v0, v1, vcc
	global_store_dwordx2 v4, v[2:3], s[0:1]
	s_endpgm
	.section	.rodata,"a",@progbits
	.p2align	6, 0x0
	.amdhsa_kernel _Z9sort_keysILj256ELj2EjN10test_utils4lessEEvPT1_T2_
		.amdhsa_group_segment_fixed_size 0
		.amdhsa_private_segment_fixed_size 0
		.amdhsa_kernarg_size 12
		.amdhsa_user_sgpr_count 6
		.amdhsa_user_sgpr_private_segment_buffer 1
		.amdhsa_user_sgpr_dispatch_ptr 0
		.amdhsa_user_sgpr_queue_ptr 0
		.amdhsa_user_sgpr_kernarg_segment_ptr 1
		.amdhsa_user_sgpr_dispatch_id 0
		.amdhsa_user_sgpr_flat_scratch_init 0
		.amdhsa_user_sgpr_kernarg_preload_length 0
		.amdhsa_user_sgpr_kernarg_preload_offset 0
		.amdhsa_user_sgpr_private_segment_size 0
		.amdhsa_uses_dynamic_stack 0
		.amdhsa_system_sgpr_private_segment_wavefront_offset 0
		.amdhsa_system_sgpr_workgroup_id_x 1
		.amdhsa_system_sgpr_workgroup_id_y 0
		.amdhsa_system_sgpr_workgroup_id_z 0
		.amdhsa_system_sgpr_workgroup_info 0
		.amdhsa_system_vgpr_workitem_id 0
		.amdhsa_next_free_vgpr 5
		.amdhsa_next_free_sgpr 7
		.amdhsa_accum_offset 8
		.amdhsa_reserve_vcc 1
		.amdhsa_reserve_flat_scratch 0
		.amdhsa_float_round_mode_32 0
		.amdhsa_float_round_mode_16_64 0
		.amdhsa_float_denorm_mode_32 3
		.amdhsa_float_denorm_mode_16_64 3
		.amdhsa_dx10_clamp 1
		.amdhsa_ieee_mode 1
		.amdhsa_fp16_overflow 0
		.amdhsa_tg_split 0
		.amdhsa_exception_fp_ieee_invalid_op 0
		.amdhsa_exception_fp_denorm_src 0
		.amdhsa_exception_fp_ieee_div_zero 0
		.amdhsa_exception_fp_ieee_overflow 0
		.amdhsa_exception_fp_ieee_underflow 0
		.amdhsa_exception_fp_ieee_inexact 0
		.amdhsa_exception_int_div_zero 0
	.end_amdhsa_kernel
	.section	.text._Z9sort_keysILj256ELj2EjN10test_utils4lessEEvPT1_T2_,"axG",@progbits,_Z9sort_keysILj256ELj2EjN10test_utils4lessEEvPT1_T2_,comdat
.Lfunc_end12:
	.size	_Z9sort_keysILj256ELj2EjN10test_utils4lessEEvPT1_T2_, .Lfunc_end12-_Z9sort_keysILj256ELj2EjN10test_utils4lessEEvPT1_T2_
                                        ; -- End function
	.section	.AMDGPU.csdata,"",@progbits
; Kernel info:
; codeLenInByte = 72
; NumSgprs: 11
; NumVgprs: 5
; NumAgprs: 0
; TotalNumVgprs: 5
; ScratchSize: 0
; MemoryBound: 0
; FloatMode: 240
; IeeeMode: 1
; LDSByteSize: 0 bytes/workgroup (compile time only)
; SGPRBlocks: 1
; VGPRBlocks: 0
; NumSGPRsForWavesPerEU: 11
; NumVGPRsForWavesPerEU: 5
; AccumOffset: 8
; Occupancy: 8
; WaveLimiterHint : 0
; COMPUTE_PGM_RSRC2:SCRATCH_EN: 0
; COMPUTE_PGM_RSRC2:USER_SGPR: 6
; COMPUTE_PGM_RSRC2:TRAP_HANDLER: 0
; COMPUTE_PGM_RSRC2:TGID_X_EN: 1
; COMPUTE_PGM_RSRC2:TGID_Y_EN: 0
; COMPUTE_PGM_RSRC2:TGID_Z_EN: 0
; COMPUTE_PGM_RSRC2:TIDIG_COMP_CNT: 0
; COMPUTE_PGM_RSRC3_GFX90A:ACCUM_OFFSET: 1
; COMPUTE_PGM_RSRC3_GFX90A:TG_SPLIT: 0
	.section	.text._Z9sort_keysILj256ELj1EiN10test_utils4lessEEvPT1_T2_,"axG",@progbits,_Z9sort_keysILj256ELj1EiN10test_utils4lessEEvPT1_T2_,comdat
	.protected	_Z9sort_keysILj256ELj1EiN10test_utils4lessEEvPT1_T2_ ; -- Begin function _Z9sort_keysILj256ELj1EiN10test_utils4lessEEvPT1_T2_
	.globl	_Z9sort_keysILj256ELj1EiN10test_utils4lessEEvPT1_T2_
	.p2align	8
	.type	_Z9sort_keysILj256ELj1EiN10test_utils4lessEEvPT1_T2_,@function
_Z9sort_keysILj256ELj1EiN10test_utils4lessEEvPT1_T2_: ; @_Z9sort_keysILj256ELj1EiN10test_utils4lessEEvPT1_T2_
; %bb.0:
	s_endpgm
	.section	.rodata,"a",@progbits
	.p2align	6, 0x0
	.amdhsa_kernel _Z9sort_keysILj256ELj1EiN10test_utils4lessEEvPT1_T2_
		.amdhsa_group_segment_fixed_size 0
		.amdhsa_private_segment_fixed_size 0
		.amdhsa_kernarg_size 12
		.amdhsa_user_sgpr_count 6
		.amdhsa_user_sgpr_private_segment_buffer 1
		.amdhsa_user_sgpr_dispatch_ptr 0
		.amdhsa_user_sgpr_queue_ptr 0
		.amdhsa_user_sgpr_kernarg_segment_ptr 1
		.amdhsa_user_sgpr_dispatch_id 0
		.amdhsa_user_sgpr_flat_scratch_init 0
		.amdhsa_user_sgpr_kernarg_preload_length 0
		.amdhsa_user_sgpr_kernarg_preload_offset 0
		.amdhsa_user_sgpr_private_segment_size 0
		.amdhsa_uses_dynamic_stack 0
		.amdhsa_system_sgpr_private_segment_wavefront_offset 0
		.amdhsa_system_sgpr_workgroup_id_x 1
		.amdhsa_system_sgpr_workgroup_id_y 0
		.amdhsa_system_sgpr_workgroup_id_z 0
		.amdhsa_system_sgpr_workgroup_info 0
		.amdhsa_system_vgpr_workitem_id 0
		.amdhsa_next_free_vgpr 1
		.amdhsa_next_free_sgpr 0
		.amdhsa_accum_offset 4
		.amdhsa_reserve_vcc 0
		.amdhsa_reserve_flat_scratch 0
		.amdhsa_float_round_mode_32 0
		.amdhsa_float_round_mode_16_64 0
		.amdhsa_float_denorm_mode_32 3
		.amdhsa_float_denorm_mode_16_64 3
		.amdhsa_dx10_clamp 1
		.amdhsa_ieee_mode 1
		.amdhsa_fp16_overflow 0
		.amdhsa_tg_split 0
		.amdhsa_exception_fp_ieee_invalid_op 0
		.amdhsa_exception_fp_denorm_src 0
		.amdhsa_exception_fp_ieee_div_zero 0
		.amdhsa_exception_fp_ieee_overflow 0
		.amdhsa_exception_fp_ieee_underflow 0
		.amdhsa_exception_fp_ieee_inexact 0
		.amdhsa_exception_int_div_zero 0
	.end_amdhsa_kernel
	.section	.text._Z9sort_keysILj256ELj1EiN10test_utils4lessEEvPT1_T2_,"axG",@progbits,_Z9sort_keysILj256ELj1EiN10test_utils4lessEEvPT1_T2_,comdat
.Lfunc_end13:
	.size	_Z9sort_keysILj256ELj1EiN10test_utils4lessEEvPT1_T2_, .Lfunc_end13-_Z9sort_keysILj256ELj1EiN10test_utils4lessEEvPT1_T2_
                                        ; -- End function
	.section	.AMDGPU.csdata,"",@progbits
; Kernel info:
; codeLenInByte = 4
; NumSgprs: 4
; NumVgprs: 0
; NumAgprs: 0
; TotalNumVgprs: 0
; ScratchSize: 0
; MemoryBound: 0
; FloatMode: 240
; IeeeMode: 1
; LDSByteSize: 0 bytes/workgroup (compile time only)
; SGPRBlocks: 0
; VGPRBlocks: 0
; NumSGPRsForWavesPerEU: 4
; NumVGPRsForWavesPerEU: 1
; AccumOffset: 4
; Occupancy: 8
; WaveLimiterHint : 0
; COMPUTE_PGM_RSRC2:SCRATCH_EN: 0
; COMPUTE_PGM_RSRC2:USER_SGPR: 6
; COMPUTE_PGM_RSRC2:TRAP_HANDLER: 0
; COMPUTE_PGM_RSRC2:TGID_X_EN: 1
; COMPUTE_PGM_RSRC2:TGID_Y_EN: 0
; COMPUTE_PGM_RSRC2:TGID_Z_EN: 0
; COMPUTE_PGM_RSRC2:TIDIG_COMP_CNT: 0
; COMPUTE_PGM_RSRC3_GFX90A:ACCUM_OFFSET: 0
; COMPUTE_PGM_RSRC3_GFX90A:TG_SPLIT: 0
	.section	.text._Z16sort_keys_valuesILj256ELj7E12hip_bfloat16iN10test_utils4lessEEvPT1_PT2_T3_,"axG",@progbits,_Z16sort_keys_valuesILj256ELj7E12hip_bfloat16iN10test_utils4lessEEvPT1_PT2_T3_,comdat
	.protected	_Z16sort_keys_valuesILj256ELj7E12hip_bfloat16iN10test_utils4lessEEvPT1_PT2_T3_ ; -- Begin function _Z16sort_keys_valuesILj256ELj7E12hip_bfloat16iN10test_utils4lessEEvPT1_PT2_T3_
	.globl	_Z16sort_keys_valuesILj256ELj7E12hip_bfloat16iN10test_utils4lessEEvPT1_PT2_T3_
	.p2align	8
	.type	_Z16sort_keys_valuesILj256ELj7E12hip_bfloat16iN10test_utils4lessEEvPT1_PT2_T3_,@function
_Z16sort_keys_valuesILj256ELj7E12hip_bfloat16iN10test_utils4lessEEvPT1_PT2_T3_: ; @_Z16sort_keys_valuesILj256ELj7E12hip_bfloat16iN10test_utils4lessEEvPT1_PT2_T3_
; %bb.0:
	s_load_dwordx4 s[0:3], s[4:5], 0x0
	s_mul_i32 s4, s6, 0x700
	s_mov_b32 s5, 0
	s_lshl_b64 s[6:7], s[4:5], 1
	v_mul_u32_u24_e32 v0, 7, v0
	s_waitcnt lgkmcnt(0)
	s_add_u32 s6, s0, s6
	s_addc_u32 s7, s1, s7
	v_lshlrev_b32_e32 v7, 1, v0
	s_lshl_b64 s[0:1], s[4:5], 2
	global_load_dwordx3 v[4:6], v7, s[6:7]
	global_load_ushort v11, v7, s[6:7] offset:12
	s_add_u32 s8, s2, s0
	v_lshlrev_b32_e32 v12, 2, v0
	s_addc_u32 s9, s3, s1
	global_load_dwordx4 v[0:3], v12, s[8:9]
	global_load_dwordx3 v[8:10], v12, s[8:9] offset:16
	s_waitcnt vmcnt(3)
	v_and_b32_e32 v13, 0xffff0000, v4
	v_lshlrev_b32_e32 v14, 16, v4
	v_and_b32_e32 v16, 0xffff0000, v5
	v_lshlrev_b32_e32 v17, 16, v5
	;; [unrolled: 2-line block ×3, first 2 shown]
	v_lshrrev_b32_e32 v15, 16, v4
	v_lshrrev_b32_e32 v18, 16, v5
	v_lshrrev_b32_e32 v21, 16, v6
	v_cmp_lt_f32_e32 vcc, v13, v14
	v_cmp_lt_f32_e64 s[0:1], v16, v17
	v_cmp_lt_f32_e64 s[2:3], v19, v20
	v_cndmask_b32_e32 v13, v15, v4, vcc
	v_cndmask_b32_e64 v14, v18, v5, s[0:1]
	v_cndmask_b32_e64 v16, v21, v6, s[2:3]
	v_cndmask_b32_e32 v4, v4, v15, vcc
	s_waitcnt vmcnt(1)
	v_cndmask_b32_e32 v15, v0, v1, vcc
	v_cndmask_b32_e32 v0, v1, v0, vcc
	v_cndmask_b32_e64 v1, v5, v18, s[0:1]
	v_cndmask_b32_e64 v5, v3, v2, s[0:1]
	;; [unrolled: 1-line block ×4, first 2 shown]
	v_lshlrev_b32_e32 v22, 16, v11
	s_waitcnt vmcnt(0)
	v_cndmask_b32_e64 v6, v9, v8, s[2:3]
	v_cndmask_b32_e64 v8, v8, v9, s[2:3]
	v_lshlrev_b32_e32 v9, 16, v13
	v_lshlrev_b32_e32 v17, 16, v14
	v_lshlrev_b32_e32 v18, 16, v16
	v_lshlrev_b32_e32 v19, 16, v1
	v_lshlrev_b32_e32 v20, 16, v3
	v_cmp_lt_f32_e32 vcc, v22, v18
	v_cmp_lt_f32_e64 s[0:1], v19, v9
	v_cmp_lt_f32_e64 s[2:3], v20, v17
	v_cndmask_b32_e32 v18, v11, v16, vcc
	v_cndmask_b32_e64 v9, v1, v13, s[0:1]
	v_cndmask_b32_e64 v17, v3, v14, s[2:3]
	v_cndmask_b32_e32 v11, v16, v11, vcc
	v_cndmask_b32_e64 v19, v2, v0, s[0:1]
	v_cndmask_b32_e64 v0, v0, v2, s[0:1]
	;; [unrolled: 1-line block ×4, first 2 shown]
	v_lshlrev_b32_e32 v21, 16, v4
	v_cndmask_b32_e64 v3, v8, v5, s[2:3]
	v_cndmask_b32_e64 v5, v5, v8, s[2:3]
	v_lshlrev_b32_e32 v8, 16, v9
	v_lshlrev_b32_e32 v13, 16, v11
	;; [unrolled: 1-line block ×5, first 2 shown]
	v_cndmask_b32_e32 v16, v10, v6, vcc
	v_cndmask_b32_e32 v6, v6, v10, vcc
	v_cmp_lt_f32_e32 vcc, v13, v14
	v_cmp_lt_f32_e64 s[0:1], v20, v21
	v_cmp_lt_f32_e64 s[2:3], v22, v8
	v_cndmask_b32_e32 v13, v11, v17, vcc
	v_cndmask_b32_e64 v8, v2, v9, s[2:3]
	v_cndmask_b32_e32 v11, v17, v11, vcc
	v_cndmask_b32_e32 v17, v6, v3, vcc
	;; [unrolled: 1-line block ×3, first 2 shown]
	v_cndmask_b32_e64 v6, v4, v1, s[0:1]
	v_cndmask_b32_e64 v1, v1, v4, s[0:1]
	;; [unrolled: 1-line block ×5, first 2 shown]
	v_lshlrev_b32_e32 v19, 16, v2
	v_lshlrev_b32_e32 v20, 16, v1
	v_cndmask_b32_e64 v14, v15, v0, s[0:1]
	v_cndmask_b32_e64 v0, v0, v15, s[0:1]
	v_lshlrev_b32_e32 v9, 16, v11
	v_lshlrev_b32_e32 v15, 16, v8
	v_cmp_lt_f32_e64 s[0:1], v19, v20
	v_lshlrev_b32_e32 v10, 16, v18
	v_cmp_lt_f32_e32 vcc, v9, v15
	v_cndmask_b32_e64 v15, v2, v1, s[0:1]
	v_cndmask_b32_e64 v1, v1, v2, s[0:1]
	v_lshlrev_b32_e32 v2, 16, v13
	v_cndmask_b32_e32 v9, v11, v8, vcc
	v_cndmask_b32_e32 v8, v8, v11, vcc
	;; [unrolled: 1-line block ×4, first 2 shown]
	v_cmp_lt_f32_e32 vcc, v10, v2
	v_cndmask_b32_e64 v4, v5, v0, s[0:1]
	v_cndmask_b32_e64 v0, v0, v5, s[0:1]
	v_cndmask_b32_e32 v5, v16, v17, vcc
	v_cndmask_b32_e32 v10, v17, v16, vcc
	v_lshlrev_b32_e32 v16, 16, v1
	v_lshlrev_b32_e32 v17, 16, v6
	v_cmp_lt_f32_e64 s[0:1], v16, v17
	v_cndmask_b32_e64 v16, v14, v0, s[0:1]
	v_cndmask_b32_e64 v0, v0, v14, s[0:1]
	;; [unrolled: 1-line block ×4, first 2 shown]
	v_lshlrev_b32_e32 v6, 16, v8
	v_lshlrev_b32_e32 v17, 16, v15
	v_cndmask_b32_e32 v2, v13, v18, vcc
	v_cmp_lt_f32_e64 s[0:1], v6, v17
	v_cndmask_b32_e64 v17, v3, v4, s[0:1]
	v_cndmask_b32_e64 v3, v4, v3, s[0:1]
	v_lshlrev_b32_e32 v4, 16, v2
	v_lshlrev_b32_e32 v19, 16, v9
	v_cndmask_b32_e64 v6, v15, v8, s[0:1]
	v_cmp_lt_f32_e64 s[2:3], v4, v19
	v_cndmask_b32_e64 v4, v10, v11, s[2:3]
	v_cndmask_b32_e64 v10, v11, v10, s[2:3]
	v_lshlrev_b32_e32 v11, 16, v6
	v_lshlrev_b32_e32 v19, 16, v1
	v_cmp_lt_f32_e64 s[4:5], v11, v19
	v_cndmask_b32_e64 v11, v6, v1, s[4:5]
	v_cndmask_b32_e64 v19, v3, v0, s[4:5]
	;; [unrolled: 1-line block ×7, first 2 shown]
	v_cndmask_b32_e32 v8, v18, v13, vcc
	v_lshlrev_b32_e32 v9, 16, v3
	v_lshlrev_b32_e32 v13, 16, v6
	v_cmp_lt_f32_e32 vcc, v9, v13
	v_cndmask_b32_e32 v9, v3, v6, vcc
	v_cndmask_b32_e32 v3, v6, v3, vcc
	v_lshlrev_b32_e32 v6, 16, v8
	v_lshlrev_b32_e32 v15, 16, v2
	v_cndmask_b32_e32 v13, v10, v17, vcc
	v_cndmask_b32_e32 v10, v17, v10, vcc
	v_cmp_lt_f32_e32 vcc, v6, v15
	v_cndmask_b32_e32 v15, v8, v2, vcc
	v_cndmask_b32_e32 v8, v2, v8, vcc
	;; [unrolled: 1-line block ×4, first 2 shown]
	v_lshlrev_b32_e32 v2, 16, v1
	v_lshlrev_b32_e32 v5, 16, v14
	v_cmp_lt_f32_e32 vcc, v2, v5
	v_lshlrev_b32_e32 v2, 16, v3
	v_lshlrev_b32_e32 v5, 16, v11
	v_cndmask_b32_e32 v17, v1, v14, vcc
	v_cndmask_b32_e32 v14, v14, v1, vcc
	;; [unrolled: 1-line block ×4, first 2 shown]
	v_cmp_lt_f32_e32 vcc, v2, v5
	v_cndmask_b32_e32 v16, v3, v11, vcc
	v_cndmask_b32_e32 v11, v11, v3, vcc
	;; [unrolled: 1-line block ×4, first 2 shown]
	v_lshlrev_b32_e32 v5, 16, v8
	v_lshlrev_b32_e32 v10, 16, v9
	v_cmp_lt_f32_e32 vcc, v5, v10
	v_cndmask_b32_e32 v10, v8, v9, vcc
	v_cndmask_b32_e32 v18, v9, v8, vcc
	s_mov_b32 s0, 0x5040100
	v_cndmask_b32_e32 v5, v4, v13, vcc
	v_cndmask_b32_e32 v4, v13, v4, vcc
	v_perm_b32 v9, v16, v11, s0
	v_perm_b32 v8, v17, v14, s0
	;; [unrolled: 1-line block ×3, first 2 shown]
	global_store_short v7, v15, s[6:7] offset:12
	global_store_dwordx3 v7, v[8:10], s[6:7]
	global_store_dwordx4 v12, v[0:3], s[8:9]
	global_store_dwordx3 v12, v[4:6], s[8:9] offset:16
	s_endpgm
	.section	.rodata,"a",@progbits
	.p2align	6, 0x0
	.amdhsa_kernel _Z16sort_keys_valuesILj256ELj7E12hip_bfloat16iN10test_utils4lessEEvPT1_PT2_T3_
		.amdhsa_group_segment_fixed_size 0
		.amdhsa_private_segment_fixed_size 0
		.amdhsa_kernarg_size 20
		.amdhsa_user_sgpr_count 6
		.amdhsa_user_sgpr_private_segment_buffer 1
		.amdhsa_user_sgpr_dispatch_ptr 0
		.amdhsa_user_sgpr_queue_ptr 0
		.amdhsa_user_sgpr_kernarg_segment_ptr 1
		.amdhsa_user_sgpr_dispatch_id 0
		.amdhsa_user_sgpr_flat_scratch_init 0
		.amdhsa_user_sgpr_kernarg_preload_length 0
		.amdhsa_user_sgpr_kernarg_preload_offset 0
		.amdhsa_user_sgpr_private_segment_size 0
		.amdhsa_uses_dynamic_stack 0
		.amdhsa_system_sgpr_private_segment_wavefront_offset 0
		.amdhsa_system_sgpr_workgroup_id_x 1
		.amdhsa_system_sgpr_workgroup_id_y 0
		.amdhsa_system_sgpr_workgroup_id_z 0
		.amdhsa_system_sgpr_workgroup_info 0
		.amdhsa_system_vgpr_workitem_id 0
		.amdhsa_next_free_vgpr 23
		.amdhsa_next_free_sgpr 10
		.amdhsa_accum_offset 24
		.amdhsa_reserve_vcc 1
		.amdhsa_reserve_flat_scratch 0
		.amdhsa_float_round_mode_32 0
		.amdhsa_float_round_mode_16_64 0
		.amdhsa_float_denorm_mode_32 3
		.amdhsa_float_denorm_mode_16_64 3
		.amdhsa_dx10_clamp 1
		.amdhsa_ieee_mode 1
		.amdhsa_fp16_overflow 0
		.amdhsa_tg_split 0
		.amdhsa_exception_fp_ieee_invalid_op 0
		.amdhsa_exception_fp_denorm_src 0
		.amdhsa_exception_fp_ieee_div_zero 0
		.amdhsa_exception_fp_ieee_overflow 0
		.amdhsa_exception_fp_ieee_underflow 0
		.amdhsa_exception_fp_ieee_inexact 0
		.amdhsa_exception_int_div_zero 0
	.end_amdhsa_kernel
	.section	.text._Z16sort_keys_valuesILj256ELj7E12hip_bfloat16iN10test_utils4lessEEvPT1_PT2_T3_,"axG",@progbits,_Z16sort_keys_valuesILj256ELj7E12hip_bfloat16iN10test_utils4lessEEvPT1_PT2_T3_,comdat
.Lfunc_end14:
	.size	_Z16sort_keys_valuesILj256ELj7E12hip_bfloat16iN10test_utils4lessEEvPT1_PT2_T3_, .Lfunc_end14-_Z16sort_keys_valuesILj256ELj7E12hip_bfloat16iN10test_utils4lessEEvPT1_PT2_T3_
                                        ; -- End function
	.section	.AMDGPU.csdata,"",@progbits
; Kernel info:
; codeLenInByte = 1004
; NumSgprs: 14
; NumVgprs: 23
; NumAgprs: 0
; TotalNumVgprs: 23
; ScratchSize: 0
; MemoryBound: 0
; FloatMode: 240
; IeeeMode: 1
; LDSByteSize: 0 bytes/workgroup (compile time only)
; SGPRBlocks: 1
; VGPRBlocks: 2
; NumSGPRsForWavesPerEU: 14
; NumVGPRsForWavesPerEU: 23
; AccumOffset: 24
; Occupancy: 8
; WaveLimiterHint : 0
; COMPUTE_PGM_RSRC2:SCRATCH_EN: 0
; COMPUTE_PGM_RSRC2:USER_SGPR: 6
; COMPUTE_PGM_RSRC2:TRAP_HANDLER: 0
; COMPUTE_PGM_RSRC2:TGID_X_EN: 1
; COMPUTE_PGM_RSRC2:TGID_Y_EN: 0
; COMPUTE_PGM_RSRC2:TGID_Z_EN: 0
; COMPUTE_PGM_RSRC2:TIDIG_COMP_CNT: 0
; COMPUTE_PGM_RSRC3_GFX90A:ACCUM_OFFSET: 5
; COMPUTE_PGM_RSRC3_GFX90A:TG_SPLIT: 0
	.section	.text._Z16sort_keys_valuesILj256ELj6E6__halfS0_N10test_utils4lessEEvPT1_PT2_T3_,"axG",@progbits,_Z16sort_keys_valuesILj256ELj6E6__halfS0_N10test_utils4lessEEvPT1_PT2_T3_,comdat
	.protected	_Z16sort_keys_valuesILj256ELj6E6__halfS0_N10test_utils4lessEEvPT1_PT2_T3_ ; -- Begin function _Z16sort_keys_valuesILj256ELj6E6__halfS0_N10test_utils4lessEEvPT1_PT2_T3_
	.globl	_Z16sort_keys_valuesILj256ELj6E6__halfS0_N10test_utils4lessEEvPT1_PT2_T3_
	.p2align	8
	.type	_Z16sort_keys_valuesILj256ELj6E6__halfS0_N10test_utils4lessEEvPT1_PT2_T3_,@function
_Z16sort_keys_valuesILj256ELj6E6__halfS0_N10test_utils4lessEEvPT1_PT2_T3_: ; @_Z16sort_keys_valuesILj256ELj6E6__halfS0_N10test_utils4lessEEvPT1_PT2_T3_
; %bb.0:
	s_load_dwordx4 s[0:3], s[4:5], 0x0
	s_mul_i32 s4, s6, 0x600
	s_mov_b32 s5, 0
	s_lshl_b64 s[4:5], s[4:5], 1
	v_mul_u32_u24_e32 v0, 6, v0
	s_waitcnt lgkmcnt(0)
	s_add_u32 s0, s0, s4
	s_addc_u32 s1, s1, s5
	s_add_u32 s2, s2, s4
	v_lshlrev_b32_e32 v3, 1, v0
	s_addc_u32 s3, s3, s5
	global_load_dwordx3 v[4:6], v3, s[0:1]
	global_load_dwordx3 v[0:2], v3, s[2:3]
	s_waitcnt vmcnt(1)
	v_lshrrev_b32_e32 v9, 16, v4
	s_waitcnt vmcnt(0)
	v_lshrrev_b32_e32 v10, 16, v0
	v_cmp_gt_f16_e32 vcc, v4, v9
	v_mov_b32_e32 v7, v9
	v_mov_b32_e32 v8, v10
	s_and_saveexec_b64 s[4:5], vcc
; %bb.1:
	v_mov_b32_e32 v7, v4
	v_mov_b32_e32 v4, v9
	;; [unrolled: 1-line block ×4, first 2 shown]
; %bb.2:
	s_or_b64 exec, exec, s[4:5]
	v_lshrrev_b32_e32 v11, 16, v5
	v_lshrrev_b32_e32 v12, 16, v1
	v_cmp_gt_f16_e32 vcc, v5, v11
	v_mov_b32_e32 v9, v11
	v_mov_b32_e32 v10, v12
	s_and_saveexec_b64 s[4:5], vcc
; %bb.3:
	v_mov_b32_e32 v9, v5
	v_mov_b32_e32 v5, v11
	;; [unrolled: 1-line block ×4, first 2 shown]
; %bb.4:
	s_or_b64 exec, exec, s[4:5]
	v_lshrrev_b32_e32 v12, 16, v6
	v_lshrrev_b32_e32 v13, 16, v2
	v_cmp_gt_f16_e32 vcc, v6, v12
	v_mov_b32_e32 v11, v12
	v_mov_b32_e32 v15, v13
	s_and_saveexec_b64 s[4:5], vcc
; %bb.5:
	v_mov_b32_e32 v11, v6
	v_mov_b32_e32 v6, v12
	;; [unrolled: 1-line block ×4, first 2 shown]
; %bb.6:
	s_or_b64 exec, exec, s[4:5]
	v_cmp_gt_f16_e32 vcc, v7, v5
	v_mov_b32_e32 v12, v5
	v_mov_b32_e32 v16, v1
	s_and_saveexec_b64 s[4:5], vcc
	s_xor_b64 s[4:5], exec, s[4:5]
; %bb.7:
	v_mov_b32_e32 v12, v7
	v_mov_b32_e32 v7, v5
	v_mov_b32_e32 v16, v8
	v_mov_b32_e32 v8, v1
; %bb.8:
	s_or_b64 exec, exec, s[4:5]
	v_cmp_gt_f16_e32 vcc, v9, v6
	v_mov_b32_e32 v13, v6
	v_mov_b32_e32 v17, v2
	s_and_saveexec_b64 s[4:5], vcc
; %bb.9:
	v_mov_b32_e32 v13, v9
	v_mov_b32_e32 v9, v6
	v_mov_b32_e32 v17, v10
	v_mov_b32_e32 v10, v2
; %bb.10:
	s_or_b64 exec, exec, s[4:5]
	v_cmp_gt_f16_e32 vcc, v4, v7
	v_mov_b32_e32 v14, v7
	v_mov_b32_e32 v18, v8
	s_and_saveexec_b64 s[4:5], vcc
	;; [unrolled: 11-line block ×8, first 2 shown]
; %bb.23:
	v_mov_b32_e32 v13, v8
	v_mov_b32_e32 v8, v7
	;; [unrolled: 1-line block ×4, first 2 shown]
; %bb.24:
	s_or_b64 exec, exec, s[4:5]
	v_mov_b32_e32 v7, s1
	v_mov_b32_e32 v16, s3
	v_cmp_gt_f16_e32 vcc, v1, v2
	v_mov_b32_e32 v15, v2
	v_mov_b32_e32 v14, v6
	s_and_saveexec_b64 s[4:5], vcc
; %bb.25:
	v_mov_b32_e32 v15, v1
	v_mov_b32_e32 v1, v2
	;; [unrolled: 1-line block ×4, first 2 shown]
; %bb.26:
	s_or_b64 exec, exec, s[4:5]
	v_add_co_u32_e32 v6, vcc, s0, v3
	v_addc_co_u32_e32 v7, vcc, 0, v7, vcc
	v_add_co_u32_e32 v2, vcc, s2, v3
	v_addc_co_u32_e32 v3, vcc, 0, v16, vcc
	v_cmp_gt_f16_e32 vcc, v11, v8
	v_mov_b32_e32 v17, v8
	v_mov_b32_e32 v16, v10
	s_and_saveexec_b64 s[0:1], vcc
; %bb.27:
	v_mov_b32_e32 v17, v11
	v_mov_b32_e32 v11, v8
	v_mov_b32_e32 v16, v9
	v_mov_b32_e32 v9, v10
; %bb.28:
	s_or_b64 exec, exec, s[0:1]
	v_cmp_gt_f16_e32 vcc, v13, v1
	v_mov_b32_e32 v10, v1
	v_mov_b32_e32 v8, v5
	s_and_saveexec_b64 s[0:1], vcc
; %bb.29:
	v_mov_b32_e32 v10, v13
	v_mov_b32_e32 v13, v1
	;; [unrolled: 1-line block ×4, first 2 shown]
; %bb.30:
	s_or_b64 exec, exec, s[0:1]
	s_mov_b32 s0, 0x5040100
	v_perm_b32 v20, v15, v10, s0
	v_perm_b32 v19, v13, v17, s0
	;; [unrolled: 1-line block ×3, first 2 shown]
	global_store_dwordx3 v[6:7], v[18:20], off
	v_perm_b32 v6, v14, v8, s0
	v_perm_b32 v5, v12, v16, s0
	;; [unrolled: 1-line block ×3, first 2 shown]
	global_store_dwordx3 v[2:3], v[4:6], off
	s_endpgm
	.section	.rodata,"a",@progbits
	.p2align	6, 0x0
	.amdhsa_kernel _Z16sort_keys_valuesILj256ELj6E6__halfS0_N10test_utils4lessEEvPT1_PT2_T3_
		.amdhsa_group_segment_fixed_size 0
		.amdhsa_private_segment_fixed_size 0
		.amdhsa_kernarg_size 20
		.amdhsa_user_sgpr_count 6
		.amdhsa_user_sgpr_private_segment_buffer 1
		.amdhsa_user_sgpr_dispatch_ptr 0
		.amdhsa_user_sgpr_queue_ptr 0
		.amdhsa_user_sgpr_kernarg_segment_ptr 1
		.amdhsa_user_sgpr_dispatch_id 0
		.amdhsa_user_sgpr_flat_scratch_init 0
		.amdhsa_user_sgpr_kernarg_preload_length 0
		.amdhsa_user_sgpr_kernarg_preload_offset 0
		.amdhsa_user_sgpr_private_segment_size 0
		.amdhsa_uses_dynamic_stack 0
		.amdhsa_system_sgpr_private_segment_wavefront_offset 0
		.amdhsa_system_sgpr_workgroup_id_x 1
		.amdhsa_system_sgpr_workgroup_id_y 0
		.amdhsa_system_sgpr_workgroup_id_z 0
		.amdhsa_system_sgpr_workgroup_info 0
		.amdhsa_system_vgpr_workitem_id 0
		.amdhsa_next_free_vgpr 21
		.amdhsa_next_free_sgpr 7
		.amdhsa_accum_offset 24
		.amdhsa_reserve_vcc 1
		.amdhsa_reserve_flat_scratch 0
		.amdhsa_float_round_mode_32 0
		.amdhsa_float_round_mode_16_64 0
		.amdhsa_float_denorm_mode_32 3
		.amdhsa_float_denorm_mode_16_64 3
		.amdhsa_dx10_clamp 1
		.amdhsa_ieee_mode 1
		.amdhsa_fp16_overflow 0
		.amdhsa_tg_split 0
		.amdhsa_exception_fp_ieee_invalid_op 0
		.amdhsa_exception_fp_denorm_src 0
		.amdhsa_exception_fp_ieee_div_zero 0
		.amdhsa_exception_fp_ieee_overflow 0
		.amdhsa_exception_fp_ieee_underflow 0
		.amdhsa_exception_fp_ieee_inexact 0
		.amdhsa_exception_int_div_zero 0
	.end_amdhsa_kernel
	.section	.text._Z16sort_keys_valuesILj256ELj6E6__halfS0_N10test_utils4lessEEvPT1_PT2_T3_,"axG",@progbits,_Z16sort_keys_valuesILj256ELj6E6__halfS0_N10test_utils4lessEEvPT1_PT2_T3_,comdat
.Lfunc_end15:
	.size	_Z16sort_keys_valuesILj256ELj6E6__halfS0_N10test_utils4lessEEvPT1_PT2_T3_, .Lfunc_end15-_Z16sort_keys_valuesILj256ELj6E6__halfS0_N10test_utils4lessEEvPT1_PT2_T3_
                                        ; -- End function
	.section	.AMDGPU.csdata,"",@progbits
; Kernel info:
; codeLenInByte = 744
; NumSgprs: 11
; NumVgprs: 21
; NumAgprs: 0
; TotalNumVgprs: 21
; ScratchSize: 0
; MemoryBound: 0
; FloatMode: 240
; IeeeMode: 1
; LDSByteSize: 0 bytes/workgroup (compile time only)
; SGPRBlocks: 1
; VGPRBlocks: 2
; NumSGPRsForWavesPerEU: 11
; NumVGPRsForWavesPerEU: 21
; AccumOffset: 24
; Occupancy: 8
; WaveLimiterHint : 0
; COMPUTE_PGM_RSRC2:SCRATCH_EN: 0
; COMPUTE_PGM_RSRC2:USER_SGPR: 6
; COMPUTE_PGM_RSRC2:TRAP_HANDLER: 0
; COMPUTE_PGM_RSRC2:TGID_X_EN: 1
; COMPUTE_PGM_RSRC2:TGID_Y_EN: 0
; COMPUTE_PGM_RSRC2:TGID_Z_EN: 0
; COMPUTE_PGM_RSRC2:TIDIG_COMP_CNT: 0
; COMPUTE_PGM_RSRC3_GFX90A:ACCUM_OFFSET: 5
; COMPUTE_PGM_RSRC3_GFX90A:TG_SPLIT: 0
	.section	.text._Z16sort_keys_valuesILj256ELj7E12hip_bfloat16S0_N10test_utils4lessEEvPT1_PT2_T3_,"axG",@progbits,_Z16sort_keys_valuesILj256ELj7E12hip_bfloat16S0_N10test_utils4lessEEvPT1_PT2_T3_,comdat
	.protected	_Z16sort_keys_valuesILj256ELj7E12hip_bfloat16S0_N10test_utils4lessEEvPT1_PT2_T3_ ; -- Begin function _Z16sort_keys_valuesILj256ELj7E12hip_bfloat16S0_N10test_utils4lessEEvPT1_PT2_T3_
	.globl	_Z16sort_keys_valuesILj256ELj7E12hip_bfloat16S0_N10test_utils4lessEEvPT1_PT2_T3_
	.p2align	8
	.type	_Z16sort_keys_valuesILj256ELj7E12hip_bfloat16S0_N10test_utils4lessEEvPT1_PT2_T3_,@function
_Z16sort_keys_valuesILj256ELj7E12hip_bfloat16S0_N10test_utils4lessEEvPT1_PT2_T3_: ; @_Z16sort_keys_valuesILj256ELj7E12hip_bfloat16S0_N10test_utils4lessEEvPT1_PT2_T3_
; %bb.0:
	s_load_dwordx4 s[0:3], s[4:5], 0x0
	s_mul_i32 s4, s6, 0x700
	s_mov_b32 s5, 0
	s_lshl_b64 s[4:5], s[4:5], 1
	v_mul_u32_u24_e32 v0, 7, v0
	s_waitcnt lgkmcnt(0)
	s_add_u32 s0, s0, s4
	s_addc_u32 s1, s1, s5
	v_lshlrev_b32_e32 v3, 1, v0
	global_load_dwordx3 v[4:6], v3, s[0:1]
	s_add_u32 s2, s2, s4
	s_addc_u32 s3, s3, s5
	global_load_dwordx3 v[0:2], v3, s[2:3]
	global_load_ushort v13, v3, s[0:1] offset:12
	global_load_ushort v14, v3, s[2:3] offset:12
	s_waitcnt vmcnt(3)
	v_and_b32_e32 v7, 0xffff0000, v4
	v_lshlrev_b32_e32 v8, 16, v4
	v_lshrrev_b32_e32 v10, 16, v4
	s_waitcnt vmcnt(2)
	v_lshrrev_b32_e32 v9, 16, v0
	v_cmp_lt_f32_e32 vcc, v7, v8
	v_mov_b32_e32 v7, v10
	v_mov_b32_e32 v8, v9
	s_and_saveexec_b64 s[4:5], vcc
; %bb.1:
	v_mov_b32_e32 v7, v4
	v_mov_b32_e32 v4, v10
	;; [unrolled: 1-line block ×4, first 2 shown]
; %bb.2:
	s_or_b64 exec, exec, s[4:5]
	v_lshrrev_b32_e32 v11, 16, v1
	v_and_b32_e32 v9, 0xffff0000, v5
	v_lshlrev_b32_e32 v10, 16, v5
	v_lshrrev_b32_e32 v12, 16, v5
	v_cmp_lt_f32_e32 vcc, v9, v10
	v_mov_b32_e32 v9, v12
	v_mov_b32_e32 v10, v11
	s_and_saveexec_b64 s[4:5], vcc
; %bb.3:
	v_mov_b32_e32 v9, v5
	v_mov_b32_e32 v5, v12
	;; [unrolled: 1-line block ×4, first 2 shown]
; %bb.4:
	s_or_b64 exec, exec, s[4:5]
	v_lshrrev_b32_e32 v12, 16, v2
	v_and_b32_e32 v11, 0xffff0000, v6
	v_lshlrev_b32_e32 v15, 16, v6
	v_lshrrev_b32_e32 v16, 16, v6
	v_cmp_lt_f32_e32 vcc, v11, v15
	v_mov_b32_e32 v11, v16
	v_mov_b32_e32 v15, v12
	s_and_saveexec_b64 s[4:5], vcc
; %bb.5:
	v_mov_b32_e32 v11, v6
	v_mov_b32_e32 v6, v16
	;; [unrolled: 1-line block ×4, first 2 shown]
; %bb.6:
	s_or_b64 exec, exec, s[4:5]
	v_lshlrev_b32_e32 v12, 16, v7
	v_lshlrev_b32_e32 v16, 16, v5
	v_cmp_lt_f32_e32 vcc, v16, v12
	v_mov_b32_e32 v12, v5
	v_mov_b32_e32 v16, v1
	s_and_saveexec_b64 s[4:5], vcc
	s_xor_b64 s[4:5], exec, s[4:5]
; %bb.7:
	v_mov_b32_e32 v12, v7
	v_mov_b32_e32 v7, v5
	;; [unrolled: 1-line block ×4, first 2 shown]
; %bb.8:
	s_or_b64 exec, exec, s[4:5]
	v_lshlrev_b32_e32 v1, 16, v9
	v_lshlrev_b32_e32 v5, 16, v6
	v_cmp_lt_f32_e32 vcc, v5, v1
	v_mov_b32_e32 v1, v6
	v_mov_b32_e32 v5, v2
	s_and_saveexec_b64 s[4:5], vcc
; %bb.9:
	v_mov_b32_e32 v1, v9
	v_mov_b32_e32 v9, v6
	;; [unrolled: 1-line block ×4, first 2 shown]
; %bb.10:
	s_or_b64 exec, exec, s[4:5]
	v_lshlrev_b32_e32 v2, 16, v11
	s_waitcnt vmcnt(1)
	v_lshlrev_b32_e32 v6, 16, v13
	v_cmp_lt_f32_e32 vcc, v6, v2
	v_mov_b32_e32 v2, v13
	s_waitcnt vmcnt(0)
	v_mov_b32_e32 v17, v14
	s_and_saveexec_b64 s[4:5], vcc
; %bb.11:
	v_mov_b32_e32 v2, v11
	v_mov_b32_e32 v11, v13
	v_mov_b32_e32 v17, v15
	v_mov_b32_e32 v15, v14
; %bb.12:
	s_or_b64 exec, exec, s[4:5]
	v_lshlrev_b32_e32 v6, 16, v4
	v_lshlrev_b32_e32 v13, 16, v7
	v_cmp_lt_f32_e32 vcc, v13, v6
	v_mov_b32_e32 v13, v7
	v_mov_b32_e32 v18, v8
	s_and_saveexec_b64 s[4:5], vcc
; %bb.13:
	v_mov_b32_e32 v13, v4
	v_mov_b32_e32 v4, v7
	v_mov_b32_e32 v18, v0
	v_mov_b32_e32 v0, v8
; %bb.14:
	s_or_b64 exec, exec, s[4:5]
	v_lshlrev_b32_e32 v6, 16, v12
	v_lshlrev_b32_e32 v7, 16, v9
	v_cmp_lt_f32_e32 vcc, v7, v6
	v_mov_b32_e32 v7, v9
	;; [unrolled: 13-line block ×12, first 2 shown]
	v_mov_b32_e32 v12, v15
	s_and_saveexec_b64 s[4:5], vcc
; %bb.35:
	v_mov_b32_e32 v16, v1
	v_mov_b32_e32 v1, v6
	;; [unrolled: 1-line block ×4, first 2 shown]
; %bb.36:
	s_or_b64 exec, exec, s[4:5]
	v_lshlrev_b32_e32 v6, 16, v4
	v_lshlrev_b32_e32 v15, 16, v2
	v_mov_b32_e32 v7, s1
	v_mov_b32_e32 v19, s3
	v_cmp_lt_f32_e32 vcc, v15, v6
	v_mov_b32_e32 v18, v2
	v_mov_b32_e32 v15, v14
	s_and_saveexec_b64 s[4:5], vcc
; %bb.37:
	v_mov_b32_e32 v18, v4
	v_mov_b32_e32 v4, v2
	;; [unrolled: 1-line block ×4, first 2 shown]
; %bb.38:
	s_or_b64 exec, exec, s[4:5]
	v_add_co_u32_e32 v6, vcc, s0, v3
	v_addc_co_u32_e32 v7, vcc, 0, v7, vcc
	v_add_co_u32_e32 v2, vcc, s2, v3
	v_addc_co_u32_e32 v3, vcc, 0, v19, vcc
	v_lshlrev_b32_e32 v14, 16, v13
	v_lshlrev_b32_e32 v19, 16, v8
	v_cmp_lt_f32_e32 vcc, v19, v14
	v_mov_b32_e32 v19, v8
	v_mov_b32_e32 v14, v9
	s_and_saveexec_b64 s[0:1], vcc
; %bb.39:
	v_mov_b32_e32 v19, v13
	v_mov_b32_e32 v13, v8
	;; [unrolled: 1-line block ×4, first 2 shown]
; %bb.40:
	s_or_b64 exec, exec, s[0:1]
	v_lshlrev_b32_e32 v8, 16, v17
	v_lshlrev_b32_e32 v9, 16, v1
	v_cmp_lt_f32_e32 vcc, v9, v8
	v_mov_b32_e32 v9, v1
	v_mov_b32_e32 v8, v5
	s_and_saveexec_b64 s[0:1], vcc
; %bb.41:
	v_mov_b32_e32 v9, v17
	v_mov_b32_e32 v17, v1
	;; [unrolled: 1-line block ×4, first 2 shown]
; %bb.42:
	s_or_b64 exec, exec, s[0:1]
	s_mov_b32 s0, 0x5040100
	v_perm_b32 v19, v19, v13, s0
	v_perm_b32 v18, v18, v4, s0
	;; [unrolled: 1-line block ×3, first 2 shown]
	global_store_short v[6:7], v16, off offset:12
	global_store_dwordx3 v[6:7], v[18:20], off
	v_perm_b32 v5, v14, v10, s0
	v_perm_b32 v4, v15, v0, s0
	;; [unrolled: 1-line block ×3, first 2 shown]
	global_store_short v[2:3], v12, off offset:12
	global_store_dwordx3 v[2:3], v[4:6], off
	s_endpgm
	.section	.rodata,"a",@progbits
	.p2align	6, 0x0
	.amdhsa_kernel _Z16sort_keys_valuesILj256ELj7E12hip_bfloat16S0_N10test_utils4lessEEvPT1_PT2_T3_
		.amdhsa_group_segment_fixed_size 0
		.amdhsa_private_segment_fixed_size 0
		.amdhsa_kernarg_size 20
		.amdhsa_user_sgpr_count 6
		.amdhsa_user_sgpr_private_segment_buffer 1
		.amdhsa_user_sgpr_dispatch_ptr 0
		.amdhsa_user_sgpr_queue_ptr 0
		.amdhsa_user_sgpr_kernarg_segment_ptr 1
		.amdhsa_user_sgpr_dispatch_id 0
		.amdhsa_user_sgpr_flat_scratch_init 0
		.amdhsa_user_sgpr_kernarg_preload_length 0
		.amdhsa_user_sgpr_kernarg_preload_offset 0
		.amdhsa_user_sgpr_private_segment_size 0
		.amdhsa_uses_dynamic_stack 0
		.amdhsa_system_sgpr_private_segment_wavefront_offset 0
		.amdhsa_system_sgpr_workgroup_id_x 1
		.amdhsa_system_sgpr_workgroup_id_y 0
		.amdhsa_system_sgpr_workgroup_id_z 0
		.amdhsa_system_sgpr_workgroup_info 0
		.amdhsa_system_vgpr_workitem_id 0
		.amdhsa_next_free_vgpr 22
		.amdhsa_next_free_sgpr 7
		.amdhsa_accum_offset 24
		.amdhsa_reserve_vcc 1
		.amdhsa_reserve_flat_scratch 0
		.amdhsa_float_round_mode_32 0
		.amdhsa_float_round_mode_16_64 0
		.amdhsa_float_denorm_mode_32 3
		.amdhsa_float_denorm_mode_16_64 3
		.amdhsa_dx10_clamp 1
		.amdhsa_ieee_mode 1
		.amdhsa_fp16_overflow 0
		.amdhsa_tg_split 0
		.amdhsa_exception_fp_ieee_invalid_op 0
		.amdhsa_exception_fp_denorm_src 0
		.amdhsa_exception_fp_ieee_div_zero 0
		.amdhsa_exception_fp_ieee_overflow 0
		.amdhsa_exception_fp_ieee_underflow 0
		.amdhsa_exception_fp_ieee_inexact 0
		.amdhsa_exception_int_div_zero 0
	.end_amdhsa_kernel
	.section	.text._Z16sort_keys_valuesILj256ELj7E12hip_bfloat16S0_N10test_utils4lessEEvPT1_PT2_T3_,"axG",@progbits,_Z16sort_keys_valuesILj256ELj7E12hip_bfloat16S0_N10test_utils4lessEEvPT1_PT2_T3_,comdat
.Lfunc_end16:
	.size	_Z16sort_keys_valuesILj256ELj7E12hip_bfloat16S0_N10test_utils4lessEEvPT1_PT2_T3_, .Lfunc_end16-_Z16sort_keys_valuesILj256ELj7E12hip_bfloat16S0_N10test_utils4lessEEvPT1_PT2_T3_
                                        ; -- End function
	.section	.AMDGPU.csdata,"",@progbits
; Kernel info:
; codeLenInByte = 1180
; NumSgprs: 11
; NumVgprs: 22
; NumAgprs: 0
; TotalNumVgprs: 22
; ScratchSize: 0
; MemoryBound: 0
; FloatMode: 240
; IeeeMode: 1
; LDSByteSize: 0 bytes/workgroup (compile time only)
; SGPRBlocks: 1
; VGPRBlocks: 2
; NumSGPRsForWavesPerEU: 11
; NumVGPRsForWavesPerEU: 22
; AccumOffset: 24
; Occupancy: 8
; WaveLimiterHint : 0
; COMPUTE_PGM_RSRC2:SCRATCH_EN: 0
; COMPUTE_PGM_RSRC2:USER_SGPR: 6
; COMPUTE_PGM_RSRC2:TRAP_HANDLER: 0
; COMPUTE_PGM_RSRC2:TGID_X_EN: 1
; COMPUTE_PGM_RSRC2:TGID_Y_EN: 0
; COMPUTE_PGM_RSRC2:TGID_Z_EN: 0
; COMPUTE_PGM_RSRC2:TIDIG_COMP_CNT: 0
; COMPUTE_PGM_RSRC3_GFX90A:ACCUM_OFFSET: 5
; COMPUTE_PGM_RSRC3_GFX90A:TG_SPLIT: 0
	.section	.text._Z16sort_keys_valuesILj256ELj4EN10test_utils16custom_test_typeIiEENS1_IcEENS0_4lessEEvPT1_PT2_T3_,"axG",@progbits,_Z16sort_keys_valuesILj256ELj4EN10test_utils16custom_test_typeIiEENS1_IcEENS0_4lessEEvPT1_PT2_T3_,comdat
	.protected	_Z16sort_keys_valuesILj256ELj4EN10test_utils16custom_test_typeIiEENS1_IcEENS0_4lessEEvPT1_PT2_T3_ ; -- Begin function _Z16sort_keys_valuesILj256ELj4EN10test_utils16custom_test_typeIiEENS1_IcEENS0_4lessEEvPT1_PT2_T3_
	.globl	_Z16sort_keys_valuesILj256ELj4EN10test_utils16custom_test_typeIiEENS1_IcEENS0_4lessEEvPT1_PT2_T3_
	.p2align	8
	.type	_Z16sort_keys_valuesILj256ELj4EN10test_utils16custom_test_typeIiEENS1_IcEENS0_4lessEEvPT1_PT2_T3_,@function
_Z16sort_keys_valuesILj256ELj4EN10test_utils16custom_test_typeIiEENS1_IcEENS0_4lessEEvPT1_PT2_T3_: ; @_Z16sort_keys_valuesILj256ELj4EN10test_utils16custom_test_typeIiEENS1_IcEENS0_4lessEEvPT1_PT2_T3_
; %bb.0:
	s_load_dwordx4 s[0:3], s[4:5], 0x0
	s_lshl_b32 s6, s6, 10
	s_mov_b32 s7, 0
	s_lshl_b64 s[4:5], s[6:7], 3
	v_lshlrev_b32_e32 v16, 5, v0
	s_waitcnt lgkmcnt(0)
	s_add_u32 s4, s0, s4
	s_addc_u32 s5, s1, s5
	s_lshl_b64 s[0:1], s[6:7], 1
	global_load_dwordx4 v[8:11], v16, s[4:5]
	s_add_u32 s6, s2, s0
	s_addc_u32 s7, s3, s1
	v_lshlrev_b32_e32 v19, 3, v0
	global_load_dwordx2 v[12:13], v19, s[6:7]
	global_load_dwordx4 v[0:3], v16, s[4:5] offset:16
	s_waitcnt vmcnt(2)
	v_cmp_eq_u32_e64 s[0:1], v10, v8
	v_cmp_lt_i32_e64 s[2:3], v11, v9
	v_cmp_lt_i32_e32 vcc, v10, v8
	s_and_b64 s[0:1], s[0:1], s[2:3]
	s_waitcnt vmcnt(1)
	v_lshrrev_b32_e32 v4, 16, v12
	v_lshrrev_b32_e32 v5, 24, v12
	v_pk_mov_b32 v[6:7], v[10:11], v[10:11] op_sel:[0,1]
	v_pk_mov_b32 v[14:15], v[8:9], v[8:9] op_sel:[0,1]
	v_lshrrev_b32_e32 v18, 8, v12
	s_or_b64 s[2:3], vcc, s[0:1]
	v_mov_b32_e32 v17, v4
	v_mov_b32_e32 v22, v5
	s_and_saveexec_b64 s[0:1], s[2:3]
; %bb.1:
	v_pk_mov_b32 v[6:7], v[8:9], v[8:9] op_sel:[0,1]
	v_pk_mov_b32 v[14:15], v[10:11], v[10:11] op_sel:[0,1]
	v_mov_b32_e32 v17, v12
	v_mov_b32_e32 v22, v18
	;; [unrolled: 1-line block ×5, first 2 shown]
; %bb.2:
	s_or_b64 exec, exec, s[0:1]
	s_waitcnt vmcnt(0)
	v_cmp_eq_u32_e64 s[0:1], v2, v0
	v_cmp_lt_i32_e64 s[2:3], v3, v1
	v_lshrrev_b32_e32 v8, 16, v13
	v_lshrrev_b32_e32 v9, 24, v13
	v_cmp_lt_i32_e32 vcc, v2, v0
	s_and_b64 s[0:1], s[0:1], s[2:3]
	v_lshrrev_b32_e32 v21, 8, v13
	s_or_b64 s[2:3], vcc, s[0:1]
	v_mov_b32_e32 v23, v9
	v_mov_b32_e32 v24, v8
	;; [unrolled: 1-line block ×4, first 2 shown]
	s_and_saveexec_b64 s[0:1], s[2:3]
; %bb.3:
	v_pk_mov_b32 v[26:27], v[0:1], v[0:1] op_sel:[0,1]
	v_pk_mov_b32 v[0:1], v[2:3], v[2:3] op_sel:[0,1]
	v_mov_b32_e32 v23, v21
	v_mov_b32_e32 v24, v13
	;; [unrolled: 1-line block ×6, first 2 shown]
	v_pk_mov_b32 v[2:3], v[26:27], v[26:27] op_sel:[0,1]
; %bb.4:
	s_or_b64 exec, exec, s[0:1]
	v_cmp_eq_u32_e64 s[0:1], v4, v10
	v_cmp_lt_i32_e64 s[2:3], v5, v7
	v_cmp_lt_i32_e32 vcc, v4, v10
	s_and_b64 s[0:1], s[0:1], s[2:3]
	s_or_b64 s[0:1], vcc, s[0:1]
	v_mov_b32_e32 v9, v13
	v_mov_b32_e32 v20, v21
	v_mov_b32_e32 v8, v4
	v_mov_b32_e32 v11, v7
	s_and_saveexec_b64 s[2:3], s[0:1]
	s_xor_b64 s[0:1], exec, s[2:3]
; %bb.5:
	v_mov_b32_e32 v8, v6
	v_pk_mov_b32 v[0:1], v[6:7], v[6:7] op_sel:[0,1]
	v_pk_mov_b32 v[6:7], v[4:5], v[4:5] op_sel:[0,1]
	v_mov_b32_e32 v9, v17
	v_mov_b32_e32 v20, v22
	;; [unrolled: 1-line block ×6, first 2 shown]
; %bb.6:
	s_or_b64 exec, exec, s[0:1]
	v_cmp_eq_u32_e64 s[0:1], v10, v14
	v_cmp_lt_i32_e64 s[2:3], v11, v15
	v_cmp_lt_i32_e32 vcc, v10, v14
	s_and_b64 s[0:1], s[0:1], s[2:3]
	s_or_b64 s[2:3], vcc, s[0:1]
	v_pk_mov_b32 v[4:5], v[14:15], v[14:15] op_sel:[0,1]
	v_mov_b32_e32 v13, v17
	v_mov_b32_e32 v21, v22
	s_and_saveexec_b64 s[0:1], s[2:3]
; %bb.7:
	v_pk_mov_b32 v[6:7], v[14:15], v[14:15] op_sel:[0,1]
	v_pk_mov_b32 v[4:5], v[10:11], v[10:11] op_sel:[0,1]
	v_mov_b32_e32 v13, v12
	v_mov_b32_e32 v21, v18
	;; [unrolled: 1-line block ×5, first 2 shown]
; %bb.8:
	s_or_b64 exec, exec, s[0:1]
	v_cmp_eq_u32_e64 s[0:1], v2, v8
	v_cmp_lt_i32_e64 s[2:3], v3, v1
	v_cmp_lt_i32_e32 vcc, v2, v8
	s_and_b64 s[0:1], s[0:1], s[2:3]
	v_mov_b32_e32 v14, s5
	v_mov_b32_e32 v11, s7
	s_or_b64 s[2:3], vcc, s[0:1]
	v_mov_b32_e32 v22, v23
	v_mov_b32_e32 v25, v24
	;; [unrolled: 1-line block ×3, first 2 shown]
	s_and_saveexec_b64 s[0:1], s[2:3]
; %bb.9:
	v_pk_mov_b32 v[28:29], v[0:1], v[0:1] op_sel:[0,1]
	v_pk_mov_b32 v[0:1], v[2:3], v[2:3] op_sel:[0,1]
	v_mov_b32_e32 v22, v20
	v_mov_b32_e32 v25, v9
	;; [unrolled: 1-line block ×6, first 2 shown]
	v_pk_mov_b32 v[2:3], v[28:29], v[28:29] op_sel:[0,1]
; %bb.10:
	s_or_b64 exec, exec, s[0:1]
	v_add_co_u32_e32 v16, vcc, s4, v16
	v_addc_co_u32_e32 v17, vcc, 0, v14, vcc
	v_add_co_u32_e32 v14, vcc, s6, v19
	v_addc_co_u32_e32 v15, vcc, 0, v11, vcc
	v_cmp_ne_u32_e64 s[0:1], v8, v10
	v_cmp_ge_i32_e64 s[2:3], v26, v7
	v_cmp_ge_i32_e32 vcc, v8, v10
	s_or_b64 s[0:1], s[0:1], s[2:3]
	s_and_b64 s[0:1], vcc, s[0:1]
                                        ; implicit-def: $vgpr10_vgpr11
	s_and_saveexec_b64 s[2:3], s[0:1]
	s_xor_b64 s[0:1], exec, s[2:3]
; %bb.11:
	v_mov_b32_e32 v10, v1
                                        ; implicit-def: $vgpr8
                                        ; implicit-def: $vgpr26
; %bb.12:
	s_or_saveexec_b64 s[0:1], s[0:1]
	v_mov_b32_e32 v19, v7
	v_mov_b32_e32 v11, v9
	;; [unrolled: 1-line block ×3, first 2 shown]
	s_xor_b64 exec, exec, s[0:1]
; %bb.13:
	v_mov_b32_e32 v10, v7
	v_mov_b32_e32 v19, v26
	v_pk_mov_b32 v[0:1], v[6:7], v[6:7] op_sel:[0,1]
	v_pk_mov_b32 v[6:7], v[8:9], v[8:9] op_sel:[0,1]
	v_mov_b32_e32 v11, v13
	v_mov_b32_e32 v23, v21
	;; [unrolled: 1-line block ×4, first 2 shown]
; %bb.14:
	s_or_b64 exec, exec, s[0:1]
	v_mov_b32_e32 v1, v10
	global_store_dwordx4 v[16:17], v[0:3], off offset:16
	v_mov_b32_e32 v7, v19
	v_lshlrev_b16_e32 v0, 8, v23
	v_lshlrev_b16_e32 v1, 8, v22
	v_or_b32_sdwa v0, v11, v0 dst_sel:DWORD dst_unused:UNUSED_PAD src0_sel:BYTE_0 src1_sel:DWORD
	v_or_b32_sdwa v1, v25, v1 dst_sel:WORD_1 dst_unused:UNUSED_PAD src0_sel:BYTE_0 src1_sel:DWORD
	v_or_b32_sdwa v1, v0, v1 dst_sel:DWORD dst_unused:UNUSED_PAD src0_sel:WORD_0 src1_sel:DWORD
	v_lshlrev_b16_e32 v0, 8, v18
	v_lshlrev_b16_e32 v2, 8, v21
	v_or_b32_sdwa v0, v12, v0 dst_sel:DWORD dst_unused:UNUSED_PAD src0_sel:BYTE_0 src1_sel:DWORD
	v_or_b32_sdwa v2, v13, v2 dst_sel:WORD_1 dst_unused:UNUSED_PAD src0_sel:BYTE_0 src1_sel:DWORD
	v_or_b32_sdwa v0, v0, v2 dst_sel:DWORD dst_unused:UNUSED_PAD src0_sel:WORD_0 src1_sel:DWORD
	global_store_dwordx4 v[16:17], v[4:7], off
	global_store_dwordx2 v[14:15], v[0:1], off
	s_endpgm
	.section	.rodata,"a",@progbits
	.p2align	6, 0x0
	.amdhsa_kernel _Z16sort_keys_valuesILj256ELj4EN10test_utils16custom_test_typeIiEENS1_IcEENS0_4lessEEvPT1_PT2_T3_
		.amdhsa_group_segment_fixed_size 0
		.amdhsa_private_segment_fixed_size 0
		.amdhsa_kernarg_size 20
		.amdhsa_user_sgpr_count 6
		.amdhsa_user_sgpr_private_segment_buffer 1
		.amdhsa_user_sgpr_dispatch_ptr 0
		.amdhsa_user_sgpr_queue_ptr 0
		.amdhsa_user_sgpr_kernarg_segment_ptr 1
		.amdhsa_user_sgpr_dispatch_id 0
		.amdhsa_user_sgpr_flat_scratch_init 0
		.amdhsa_user_sgpr_kernarg_preload_length 0
		.amdhsa_user_sgpr_kernarg_preload_offset 0
		.amdhsa_user_sgpr_private_segment_size 0
		.amdhsa_uses_dynamic_stack 0
		.amdhsa_system_sgpr_private_segment_wavefront_offset 0
		.amdhsa_system_sgpr_workgroup_id_x 1
		.amdhsa_system_sgpr_workgroup_id_y 0
		.amdhsa_system_sgpr_workgroup_id_z 0
		.amdhsa_system_sgpr_workgroup_info 0
		.amdhsa_system_vgpr_workitem_id 0
		.amdhsa_next_free_vgpr 30
		.amdhsa_next_free_sgpr 8
		.amdhsa_accum_offset 32
		.amdhsa_reserve_vcc 1
		.amdhsa_reserve_flat_scratch 0
		.amdhsa_float_round_mode_32 0
		.amdhsa_float_round_mode_16_64 0
		.amdhsa_float_denorm_mode_32 3
		.amdhsa_float_denorm_mode_16_64 3
		.amdhsa_dx10_clamp 1
		.amdhsa_ieee_mode 1
		.amdhsa_fp16_overflow 0
		.amdhsa_tg_split 0
		.amdhsa_exception_fp_ieee_invalid_op 0
		.amdhsa_exception_fp_denorm_src 0
		.amdhsa_exception_fp_ieee_div_zero 0
		.amdhsa_exception_fp_ieee_overflow 0
		.amdhsa_exception_fp_ieee_underflow 0
		.amdhsa_exception_fp_ieee_inexact 0
		.amdhsa_exception_int_div_zero 0
	.end_amdhsa_kernel
	.section	.text._Z16sort_keys_valuesILj256ELj4EN10test_utils16custom_test_typeIiEENS1_IcEENS0_4lessEEvPT1_PT2_T3_,"axG",@progbits,_Z16sort_keys_valuesILj256ELj4EN10test_utils16custom_test_typeIiEENS1_IcEENS0_4lessEEvPT1_PT2_T3_,comdat
.Lfunc_end17:
	.size	_Z16sort_keys_valuesILj256ELj4EN10test_utils16custom_test_typeIiEENS1_IcEENS0_4lessEEvPT1_PT2_T3_, .Lfunc_end17-_Z16sort_keys_valuesILj256ELj4EN10test_utils16custom_test_typeIiEENS1_IcEENS0_4lessEEvPT1_PT2_T3_
                                        ; -- End function
	.section	.AMDGPU.csdata,"",@progbits
; Kernel info:
; codeLenInByte = 820
; NumSgprs: 12
; NumVgprs: 30
; NumAgprs: 0
; TotalNumVgprs: 30
; ScratchSize: 0
; MemoryBound: 0
; FloatMode: 240
; IeeeMode: 1
; LDSByteSize: 0 bytes/workgroup (compile time only)
; SGPRBlocks: 1
; VGPRBlocks: 3
; NumSGPRsForWavesPerEU: 12
; NumVGPRsForWavesPerEU: 30
; AccumOffset: 32
; Occupancy: 8
; WaveLimiterHint : 0
; COMPUTE_PGM_RSRC2:SCRATCH_EN: 0
; COMPUTE_PGM_RSRC2:USER_SGPR: 6
; COMPUTE_PGM_RSRC2:TRAP_HANDLER: 0
; COMPUTE_PGM_RSRC2:TGID_X_EN: 1
; COMPUTE_PGM_RSRC2:TGID_Y_EN: 0
; COMPUTE_PGM_RSRC2:TGID_Z_EN: 0
; COMPUTE_PGM_RSRC2:TIDIG_COMP_CNT: 0
; COMPUTE_PGM_RSRC3_GFX90A:ACCUM_OFFSET: 7
; COMPUTE_PGM_RSRC3_GFX90A:TG_SPLIT: 0
	.section	.text._Z16sort_keys_valuesILj256ELj11EdxN10test_utils4lessEEvPT1_PT2_T3_,"axG",@progbits,_Z16sort_keys_valuesILj256ELj11EdxN10test_utils4lessEEvPT1_PT2_T3_,comdat
	.protected	_Z16sort_keys_valuesILj256ELj11EdxN10test_utils4lessEEvPT1_PT2_T3_ ; -- Begin function _Z16sort_keys_valuesILj256ELj11EdxN10test_utils4lessEEvPT1_PT2_T3_
	.globl	_Z16sort_keys_valuesILj256ELj11EdxN10test_utils4lessEEvPT1_PT2_T3_
	.p2align	8
	.type	_Z16sort_keys_valuesILj256ELj11EdxN10test_utils4lessEEvPT1_PT2_T3_,@function
_Z16sort_keys_valuesILj256ELj11EdxN10test_utils4lessEEvPT1_PT2_T3_: ; @_Z16sort_keys_valuesILj256ELj11EdxN10test_utils4lessEEvPT1_PT2_T3_
; %bb.0:
	s_mov_b64 s[10:11], s[2:3]
	s_mov_b64 s[8:9], s[0:1]
	s_load_dwordx4 s[0:3], s[4:5], 0x0
	s_add_u32 s8, s8, s7
	s_mul_i32 s4, s6, 0xb00
	s_mov_b32 s5, 0
	s_addc_u32 s9, s9, 0
	s_lshl_b64 s[4:5], s[4:5], 3
	s_waitcnt lgkmcnt(0)
	s_add_u32 s0, s0, s4
	v_mul_u32_u24_e32 v0, 11, v0
	s_addc_u32 s1, s1, s5
	v_lshlrev_b32_e32 v250, 3, v0
	global_load_dwordx4 v[12:15], v250, s[0:1] offset:48
	global_load_dwordx4 v[8:11], v250, s[0:1] offset:32
	;; [unrolled: 1-line block ×3, first 2 shown]
	global_load_dwordx4 v[0:3], v250, s[0:1]
	s_add_u32 s2, s2, s4
	s_addc_u32 s3, s3, s5
	global_load_dwordx2 v[20:21], v250, s[0:1] offset:80
	global_load_dwordx4 v[16:19], v250, s[0:1] offset:64
	global_load_dwordx4 v[58:61], v250, s[2:3] offset:16
	global_load_dwordx4 v[22:25], v250, s[2:3]
	global_load_dwordx4 v[66:69], v250, s[2:3] offset:48
	global_load_dwordx4 v[62:65], v250, s[2:3] offset:32
	global_load_dwordx2 v[74:75], v250, s[2:3] offset:80
	global_load_dwordx4 v[70:73], v250, s[2:3] offset:64
	s_waitcnt vmcnt(4)
	v_mov_b32_e32 v56, v24
	v_pk_mov_b32 v[212:213], v[30:31], v[30:31] op_sel:[0,1]
	v_cmp_lt_f64_e32 vcc, v[2:3], v[0:1]
	v_pk_mov_b32 v[202:203], v[20:21], v[20:21] op_sel:[0,1]
	v_pk_mov_b32 v[200:201], v[18:19], v[18:19] op_sel:[0,1]
	;; [unrolled: 1-line block ×11, first 2 shown]
	v_mov_b32_e32 v57, v25
	v_pk_mov_b32 v[54:55], v[22:23], v[22:23] op_sel:[0,1]
	v_pk_mov_b32 v[78:79], v[0:1], v[0:1] op_sel:[0,1]
	;; [unrolled: 1-line block ×6, first 2 shown]
	s_and_saveexec_b64 s[4:5], vcc
	s_cbranch_execz .LBB18_2
; %bb.1:
	v_mov_b32_e32 v182, v2
	v_mov_b32_e32 v183, v3
	;; [unrolled: 1-line block ×22, first 2 shown]
	v_pk_mov_b32 v[78:79], v[2:3], v[2:3] op_sel:[0,1]
	v_pk_mov_b32 v[2:3], v[0:1], v[0:1] op_sel:[0,1]
	;; [unrolled: 1-line block ×4, first 2 shown]
.LBB18_2:
	s_or_b64 exec, exec, s[4:5]
	s_waitcnt vmcnt(0)
	v_pk_mov_b32 v[22:23], v[54:55], v[54:55] op_sel:[0,1]
	v_accvgpr_write_b32 a159, v85
	v_accvgpr_write_b32 a95, v85
	;; [unrolled: 1-line block ×5, first 2 shown]
	v_pk_mov_b32 v[170:171], v[84:85], v[84:85] op_sel:[0,1]
	v_pk_mov_b32 v[138:139], v[84:85], v[84:85] op_sel:[0,1]
	;; [unrolled: 1-line block ×4, first 2 shown]
	v_cmp_lt_f64_e32 vcc, v[188:189], v[186:187]
	v_pk_mov_b32 v[24:25], v[56:57], v[56:57] op_sel:[0,1]
	v_pk_mov_b32 v[26:27], v[58:59], v[58:59] op_sel:[0,1]
	;; [unrolled: 1-line block ×10, first 2 shown]
	v_accvgpr_write_b32 a145, v71
	v_accvgpr_write_b32 a144, v70
	;; [unrolled: 1-line block ×68, first 2 shown]
	v_pk_mov_b32 v[146:147], v[60:61], v[60:61] op_sel:[0,1]
	v_pk_mov_b32 v[144:145], v[58:59], v[58:59] op_sel:[0,1]
	;; [unrolled: 1-line block ×14, first 2 shown]
	v_accvgpr_write_b32 a158, v84
	v_accvgpr_write_b32 a157, v83
	;; [unrolled: 1-line block ×87, first 2 shown]
	v_pk_mov_b32 v[168:169], v[82:83], v[82:83] op_sel:[0,1]
	v_pk_mov_b32 v[166:167], v[80:81], v[80:81] op_sel:[0,1]
	;; [unrolled: 1-line block ×23, first 2 shown]
	s_and_saveexec_b64 s[4:5], vcc
	s_cbranch_execz .LBB18_4
; %bb.3:
	v_mov_b32_e32 v144, v60
	v_mov_b32_e32 v145, v61
	;; [unrolled: 1-line block ×28, first 2 shown]
	v_pk_mov_b32 v[212:213], v[144:145], v[144:145] op_sel:[0,1]
	v_mov_b32_e32 v108, v54
	v_mov_b32_e32 v109, v55
	;; [unrolled: 1-line block ×8, first 2 shown]
	v_accvgpr_write_b32 a224, v54
	v_accvgpr_write_b32 a225, v55
	;; [unrolled: 1-line block ×70, first 2 shown]
	v_mov_b32_e32 v22, v54
	v_mov_b32_e32 v23, v55
	v_mov_b32_e32 v24, v56
	v_mov_b32_e32 v25, v57
	v_mov_b32_e32 v26, v60
	v_mov_b32_e32 v27, v61
	v_mov_b32_e32 v28, v58
	v_mov_b32_e32 v29, v59
	v_mov_b32_e32 v30, v62
	v_mov_b32_e32 v31, v63
	v_mov_b32_e32 v32, v64
	v_mov_b32_e32 v33, v65
	v_mov_b32_e32 v34, v66
	v_mov_b32_e32 v35, v67
	v_mov_b32_e32 v36, v68
	v_mov_b32_e32 v37, v69
	v_mov_b32_e32 v38, v70
	v_mov_b32_e32 v39, v71
	v_mov_b32_e32 v40, v72
	v_mov_b32_e32 v41, v73
	v_mov_b32_e32 v42, v74
	v_mov_b32_e32 v43, v75
	v_pk_mov_b32 v[202:203], v[134:135], v[134:135] op_sel:[0,1]
	v_pk_mov_b32 v[200:201], v[132:133], v[132:133] op_sel:[0,1]
	;; [unrolled: 1-line block ×19, first 2 shown]
.LBB18_4:
	s_or_b64 exec, exec, s[4:5]
	v_pk_mov_b32 v[4:5], v[192:193], v[192:193] op_sel:[0,1]
	v_pk_mov_b32 v[44:45], v[190:191], v[190:191] op_sel:[0,1]
	v_cmp_lt_f64_e32 vcc, v[192:193], v[190:191]
	v_pk_mov_b32 v[8:9], v[192:193], v[192:193] op_sel:[0,1]
	v_pk_mov_b32 v[20:21], v[62:63], v[62:63] op_sel:[0,1]
	s_and_saveexec_b64 s[4:5], vcc
	s_cbranch_execz .LBB18_6
; %bb.5:
	v_mov_b32_e32 v114, v182
	v_mov_b32_e32 v115, v183
	;; [unrolled: 1-line block ×24, first 2 shown]
	v_accvgpr_write_b32 a255, v171
	v_pk_mov_b32 v[212:213], v[144:145], v[144:145] op_sel:[0,1]
	v_accvgpr_write_b32 a0, v140
	v_accvgpr_write_b32 a1, v141
	;; [unrolled: 1-line block ×60, first 2 shown]
	v_mov_b32_e32 v22, v140
	v_mov_b32_e32 v23, v141
	;; [unrolled: 1-line block ×22, first 2 shown]
	v_accvgpr_write_b32 a233, v149
	v_accvgpr_write_b32 a232, v148
	;; [unrolled: 1-line block ×10, first 2 shown]
	v_pk_mov_b32 v[202:203], v[134:135], v[134:135] op_sel:[0,1]
	v_pk_mov_b32 v[200:201], v[132:133], v[132:133] op_sel:[0,1]
	;; [unrolled: 1-line block ×15, first 2 shown]
	v_accvgpr_write_b32 a254, v170
	v_accvgpr_write_b32 a253, v169
	;; [unrolled: 1-line block ×21, first 2 shown]
	v_pk_mov_b32 v[210:211], v[142:143], v[142:143] op_sel:[0,1]
	v_pk_mov_b32 v[208:209], v[140:141], v[140:141] op_sel:[0,1]
	;; [unrolled: 1-line block ×4, first 2 shown]
.LBB18_6:
	s_or_b64 exec, exec, s[4:5]
	v_pk_mov_b32 v[4:5], v[196:197], v[196:197] op_sel:[0,1]
	v_pk_mov_b32 v[46:47], v[194:195], v[194:195] op_sel:[0,1]
	v_cmp_lt_f64_e32 vcc, v[196:197], v[194:195]
	v_pk_mov_b32 v[58:59], v[196:197], v[196:197] op_sel:[0,1]
	v_pk_mov_b32 v[236:237], v[66:67], v[66:67] op_sel:[0,1]
	s_and_saveexec_b64 s[4:5], vcc
	s_cbranch_execz .LBB18_8
; %bb.7:
	v_mov_b32_e32 v114, v182
	v_mov_b32_e32 v115, v183
	v_mov_b32_e32 v116, v184
	v_mov_b32_e32 v117, v185
	v_mov_b32_e32 v118, v186
	v_mov_b32_e32 v119, v187
	v_mov_b32_e32 v120, v188
	v_mov_b32_e32 v121, v189
	v_mov_b32_e32 v122, v190
	v_mov_b32_e32 v123, v191
	v_mov_b32_e32 v124, v192
	v_mov_b32_e32 v125, v193
	v_mov_b32_e32 v126, v196
	v_mov_b32_e32 v127, v197
	v_mov_b32_e32 v128, v194
	v_mov_b32_e32 v129, v195
	v_mov_b32_e32 v130, v198
	v_mov_b32_e32 v131, v199
	v_mov_b32_e32 v132, v200
	v_mov_b32_e32 v133, v201
	v_mov_b32_e32 v134, v202
	v_mov_b32_e32 v135, v203
	v_accvgpr_write_b32 a12, v68
	v_accvgpr_write_b32 a13, v69
	v_accvgpr_mov_b32 a63, a31
	v_pk_mov_b32 v[212:213], v[144:145], v[144:145] op_sel:[0,1]
	v_accvgpr_mov_b32 a64, a0
	v_accvgpr_mov_b32 a65, a1
	;; [unrolled: 1-line block ×12, first 2 shown]
	v_accvgpr_write_b32 a76, v68
	v_accvgpr_write_b32 a77, v69
	;; [unrolled: 1-line block ×4, first 2 shown]
	v_accvgpr_mov_b32 a128, a0
	v_accvgpr_mov_b32 a129, a1
	;; [unrolled: 1-line block ×12, first 2 shown]
	v_accvgpr_write_b32 a140, v68
	v_accvgpr_write_b32 a141, v69
	;; [unrolled: 1-line block ×6, first 2 shown]
	v_accvgpr_read_b32 v22, a0
	v_accvgpr_read_b32 v23, a1
	;; [unrolled: 1-line block ×12, first 2 shown]
	v_mov_b32_e32 v34, v68
	v_mov_b32_e32 v35, v69
	;; [unrolled: 1-line block ×10, first 2 shown]
	v_accvgpr_mov_b32 a45, a13
	v_accvgpr_mov_b32 a44, a12
	;; [unrolled: 1-line block ×14, first 2 shown]
	v_pk_mov_b32 v[202:203], v[134:135], v[134:135] op_sel:[0,1]
	v_pk_mov_b32 v[200:201], v[132:133], v[132:133] op_sel:[0,1]
	;; [unrolled: 1-line block ×15, first 2 shown]
	v_accvgpr_mov_b32 a62, a30
	v_accvgpr_mov_b32 a61, a29
	;; [unrolled: 1-line block ×17, first 2 shown]
	v_pk_mov_b32 v[210:211], v[142:143], v[142:143] op_sel:[0,1]
	v_pk_mov_b32 v[208:209], v[140:141], v[140:141] op_sel:[0,1]
	;; [unrolled: 1-line block ×4, first 2 shown]
.LBB18_8:
	s_or_b64 exec, exec, s[4:5]
	v_accvgpr_write_b32 a161, v71
	v_pk_mov_b32 v[4:5], v[200:201], v[200:201] op_sel:[0,1]
	v_pk_mov_b32 v[48:49], v[198:199], v[198:199] op_sel:[0,1]
	v_cmp_lt_f64_e32 vcc, v[200:201], v[198:199]
	v_pk_mov_b32 v[172:173], v[200:201], v[200:201] op_sel:[0,1]
	v_accvgpr_write_b32 a160, v70
	s_and_saveexec_b64 s[4:5], vcc
	s_cbranch_execz .LBB18_10
; %bb.9:
	v_mov_b32_e32 v114, v182
	v_mov_b32_e32 v115, v183
	;; [unrolled: 1-line block ×22, first 2 shown]
	v_accvgpr_write_b32 a80, v72
	v_accvgpr_write_b32 a81, v73
	v_accvgpr_mov_b32 a159, a95
	v_pk_mov_b32 v[212:213], v[144:145], v[144:145] op_sel:[0,1]
	v_accvgpr_write_b32 a161, v73
	v_accvgpr_read_b32 v22, a64
	v_accvgpr_read_b32 v23, a65
	;; [unrolled: 1-line block ×16, first 2 shown]
	v_mov_b32_e32 v38, v72
	v_mov_b32_e32 v39, v73
	;; [unrolled: 1-line block ×6, first 2 shown]
	v_accvgpr_mov_b32 a145, a81
	v_accvgpr_mov_b32 a144, a80
	;; [unrolled: 1-line block ×18, first 2 shown]
	v_pk_mov_b32 v[202:203], v[134:135], v[134:135] op_sel:[0,1]
	v_pk_mov_b32 v[200:201], v[132:133], v[132:133] op_sel:[0,1]
	v_pk_mov_b32 v[198:199], v[130:131], v[130:131] op_sel:[0,1]
	v_pk_mov_b32 v[196:197], v[128:129], v[128:129] op_sel:[0,1]
	v_pk_mov_b32 v[194:195], v[126:127], v[126:127] op_sel:[0,1]
	v_pk_mov_b32 v[192:193], v[124:125], v[124:125] op_sel:[0,1]
	v_pk_mov_b32 v[190:191], v[122:123], v[122:123] op_sel:[0,1]
	v_pk_mov_b32 v[188:189], v[120:121], v[120:121] op_sel:[0,1]
	v_pk_mov_b32 v[186:187], v[118:119], v[118:119] op_sel:[0,1]
	v_pk_mov_b32 v[184:185], v[116:117], v[116:117] op_sel:[0,1]
	v_pk_mov_b32 v[182:183], v[114:115], v[114:115] op_sel:[0,1]
	v_pk_mov_b32 v[172:173], v[48:49], v[48:49] op_sel:[0,1]
	v_pk_mov_b32 v[48:49], v[4:5], v[4:5] op_sel:[0,1]
	v_accvgpr_write_b32 a160, v72
	v_pk_mov_b32 v[72:73], v[70:71], v[70:71] op_sel:[0,1]
	v_accvgpr_mov_b32 a158, a94
	v_accvgpr_mov_b32 a157, a93
	;; [unrolled: 1-line block ×13, first 2 shown]
	v_pk_mov_b32 v[210:211], v[142:143], v[142:143] op_sel:[0,1]
	v_pk_mov_b32 v[208:209], v[140:141], v[140:141] op_sel:[0,1]
	v_pk_mov_b32 v[206:207], v[138:139], v[138:139] op_sel:[0,1]
	v_pk_mov_b32 v[204:205], v[136:137], v[136:137] op_sel:[0,1]
.LBB18_10:
	s_or_b64 exec, exec, s[4:5]
	v_mov_b32_e32 v4, v54
	v_mov_b32_e32 v5, v55
	buffer_store_dword v4, off, s[8:11], 0  ; 4-byte Folded Spill
	s_nop 0
	buffer_store_dword v5, off, s[8:11], 0 offset:4 ; 4-byte Folded Spill
	buffer_store_dword v6, off, s[8:11], 0 offset:8 ; 4-byte Folded Spill
	;; [unrolled: 1-line block ×32, first 2 shown]
	s_nop 0
	buffer_store_dword v55, off, s[8:11], 0 offset:132 ; 4-byte Folded Spill
	buffer_store_dword v56, off, s[8:11], 0 offset:136 ; 4-byte Folded Spill
	;; [unrolled: 1-line block ×31, first 2 shown]
	v_cmp_lt_f64_e32 vcc, v[10:11], v[2:3]
	v_accvgpr_write_b32 a163, v57
	v_pk_mov_b32 v[174:175], v[10:11], v[10:11] op_sel:[0,1]
	v_accvgpr_write_b32 a162, v56
	s_and_saveexec_b64 s[4:5], vcc
	s_xor_b64 s[4:5], exec, s[4:5]
	s_cbranch_execz .LBB18_12
; %bb.11:
	v_mov_b32_e32 v43, v75
	v_mov_b32_e32 v4, v54
	;; [unrolled: 1-line block ×27, first 2 shown]
	v_accvgpr_read_b32 v38, a160
	v_accvgpr_read_b32 v39, a161
	v_mov_b32_e32 v40, v72
	v_mov_b32_e32 v41, v73
	;; [unrolled: 1-line block ×3, first 2 shown]
	v_accvgpr_write_b32 a255, v43
	v_mov_b32_e32 v184, v10
	v_mov_b32_e32 v185, v11
	;; [unrolled: 1-line block ×6, first 2 shown]
	v_accvgpr_write_b32 a2, v6
	v_accvgpr_write_b32 a3, v7
	v_accvgpr_write_b32 a8, v20
	v_accvgpr_write_b32 a9, v21
	v_mov_b32_e32 v226, v6
	v_mov_b32_e32 v227, v7
	;; [unrolled: 1-line block ×4, first 2 shown]
	v_accvgpr_write_b32 a66, v6
	v_accvgpr_write_b32 a67, v7
	;; [unrolled: 1-line block ×39, first 2 shown]
	buffer_store_dword v4, off, s[8:11], 0 offset:128 ; 4-byte Folded Spill
	s_nop 0
	buffer_store_dword v5, off, s[8:11], 0 offset:132 ; 4-byte Folded Spill
	buffer_store_dword v6, off, s[8:11], 0 offset:136 ; 4-byte Folded Spill
	buffer_store_dword v7, off, s[8:11], 0 offset:140 ; 4-byte Folded Spill
	buffer_store_dword v8, off, s[8:11], 0 offset:144 ; 4-byte Folded Spill
	buffer_store_dword v9, off, s[8:11], 0 offset:148 ; 4-byte Folded Spill
	buffer_store_dword v10, off, s[8:11], 0 offset:152 ; 4-byte Folded Spill
	buffer_store_dword v11, off, s[8:11], 0 offset:156 ; 4-byte Folded Spill
	buffer_store_dword v12, off, s[8:11], 0 offset:160 ; 4-byte Folded Spill
	buffer_store_dword v13, off, s[8:11], 0 offset:164 ; 4-byte Folded Spill
	buffer_store_dword v14, off, s[8:11], 0 offset:168 ; 4-byte Folded Spill
	buffer_store_dword v15, off, s[8:11], 0 offset:172 ; 4-byte Folded Spill
	buffer_store_dword v16, off, s[8:11], 0 offset:176 ; 4-byte Folded Spill
	buffer_store_dword v17, off, s[8:11], 0 offset:180 ; 4-byte Folded Spill
	buffer_store_dword v18, off, s[8:11], 0 offset:184 ; 4-byte Folded Spill
	buffer_store_dword v19, off, s[8:11], 0 offset:188 ; 4-byte Folded Spill
	buffer_store_dword v20, off, s[8:11], 0 offset:192 ; 4-byte Folded Spill
	buffer_store_dword v21, off, s[8:11], 0 offset:196 ; 4-byte Folded Spill
	buffer_store_dword v22, off, s[8:11], 0 offset:200 ; 4-byte Folded Spill
	buffer_store_dword v23, off, s[8:11], 0 offset:204 ; 4-byte Folded Spill
	buffer_store_dword v24, off, s[8:11], 0 offset:208 ; 4-byte Folded Spill
	buffer_store_dword v25, off, s[8:11], 0 offset:212 ; 4-byte Folded Spill
	buffer_store_dword v26, off, s[8:11], 0 offset:216 ; 4-byte Folded Spill
	buffer_store_dword v27, off, s[8:11], 0 offset:220 ; 4-byte Folded Spill
	buffer_store_dword v28, off, s[8:11], 0 offset:224 ; 4-byte Folded Spill
	buffer_store_dword v29, off, s[8:11], 0 offset:228 ; 4-byte Folded Spill
	buffer_store_dword v30, off, s[8:11], 0 offset:232 ; 4-byte Folded Spill
	buffer_store_dword v31, off, s[8:11], 0 offset:236 ; 4-byte Folded Spill
	buffer_store_dword v32, off, s[8:11], 0 offset:240 ; 4-byte Folded Spill
	buffer_store_dword v33, off, s[8:11], 0 offset:244 ; 4-byte Folded Spill
	buffer_store_dword v34, off, s[8:11], 0 offset:248 ; 4-byte Folded Spill
	buffer_store_dword v35, off, s[8:11], 0 offset:252 ; 4-byte Folded Spill
	v_accvgpr_write_b32 a144, v54
	v_accvgpr_write_b32 a145, v55
	;; [unrolled: 1-line block ×12, first 2 shown]
	v_mov_b32_e32 v224, v54
	v_accvgpr_mov_b32 a128, a144
	v_mov_b32_e32 v225, v55
	v_mov_b32_e32 v228, v56
	;; [unrolled: 1-line block ×7, first 2 shown]
	v_accvgpr_mov_b32 a129, a145
	v_accvgpr_mov_b32 a130, a146
	;; [unrolled: 1-line block ×31, first 2 shown]
	v_accvgpr_write_b32 a32, v224
	v_accvgpr_write_b32 a163, v7
	v_mov_b32_e32 v186, v2
	v_mov_b32_e32 v187, v3
	;; [unrolled: 1-line block ×12, first 2 shown]
	v_accvgpr_write_b32 a0, v54
	v_accvgpr_write_b32 a1, v55
	;; [unrolled: 1-line block ×20, first 2 shown]
	v_pk_mov_b32 v[174:175], v[2:3], v[2:3] op_sel:[0,1]
	v_accvgpr_write_b32 a33, v225
	v_accvgpr_write_b32 a34, v226
	v_accvgpr_write_b32 a35, v227
	v_accvgpr_write_b32 a36, v228
	v_accvgpr_write_b32 a37, v229
	v_accvgpr_write_b32 a38, v230
	v_accvgpr_write_b32 a39, v231
	v_accvgpr_write_b32 a40, v232
	v_accvgpr_write_b32 a41, v233
	v_accvgpr_write_b32 a42, v234
	v_accvgpr_write_b32 a43, v235
	v_accvgpr_write_b32 a44, v236
	v_accvgpr_write_b32 a45, v237
	v_accvgpr_write_b32 a162, v6
	v_pk_mov_b32 v[6:7], v[56:57], v[56:57] op_sel:[0,1]
	v_pk_mov_b32 v[2:3], v[10:11], v[10:11] op_sel:[0,1]
	v_accvgpr_write_b32 a46, v238
	v_accvgpr_write_b32 a47, v239
	;; [unrolled: 1-line block ×18, first 2 shown]
.LBB18_12:
	s_or_b64 exec, exec, s[4:5]
	v_accvgpr_write_b32 a201, v61
	v_cmp_lt_f64_e32 vcc, v[44:45], v[0:1]
	v_pk_mov_b32 v[4:5], v[44:45], v[44:45] op_sel:[0,1]
	v_accvgpr_write_b32 a200, v60
	s_and_saveexec_b64 s[4:5], vcc
	s_cbranch_execz .LBB18_14
; %bb.13:
	v_mov_b32_e32 v224, v108
	v_accvgpr_write_b32 a144, v108
	v_accvgpr_write_b32 a145, v109
	v_accvgpr_write_b32 a146, v110
	v_accvgpr_write_b32 a147, v111
	v_accvgpr_write_b32 a148, v112
	v_accvgpr_write_b32 a149, v113
	v_accvgpr_write_b32 a150, v20
	v_accvgpr_write_b32 a151, v21
	v_accvgpr_write_b32 a152, v60
	v_accvgpr_write_b32 a153, v61
	v_accvgpr_write_b32 a154, v64
	v_accvgpr_write_b32 a155, v65
	v_accvgpr_write_b32 a156, v236
	v_accvgpr_write_b32 a157, v237
	v_accvgpr_write_b32 a158, v68
	v_accvgpr_write_b32 a159, v69
	v_mov_b32_e32 v114, v20
	v_mov_b32_e32 v115, v21
	;; [unrolled: 1-line block ×13, first 2 shown]
	v_accvgpr_mov_b32 a128, a144
	v_accvgpr_write_b32 a32, v224
	v_pk_mov_b32 v[170:171], v[138:139], v[138:139] op_sel:[0,1]
	v_accvgpr_write_b32 a201, v21
	v_mov_b32_e32 v188, v44
	v_mov_b32_e32 v189, v45
	;; [unrolled: 1-line block ×4, first 2 shown]
	v_accvgpr_write_b32 a224, v108
	v_accvgpr_write_b32 a225, v109
	;; [unrolled: 1-line block ×38, first 2 shown]
	v_mov_b32_e32 v22, v108
	v_mov_b32_e32 v23, v109
	;; [unrolled: 1-line block ×16, first 2 shown]
	v_accvgpr_read_b32 v38, a160
	v_accvgpr_read_b32 v39, a161
	v_mov_b32_e32 v40, v72
	v_mov_b32_e32 v41, v73
	v_mov_b32_e32 v42, v74
	v_mov_b32_e32 v43, v75
	v_accvgpr_mov_b32 a129, a145
	v_accvgpr_mov_b32 a130, a146
	;; [unrolled: 1-line block ×17, first 2 shown]
	v_accvgpr_write_b32 a33, v225
	v_accvgpr_write_b32 a34, v226
	;; [unrolled: 1-line block ×13, first 2 shown]
	v_pk_mov_b32 v[146:147], v[114:115], v[114:115] op_sel:[0,1]
	v_pk_mov_b32 v[144:145], v[112:113], v[112:113] op_sel:[0,1]
	;; [unrolled: 1-line block ×6, first 2 shown]
	v_accvgpr_write_b32 a200, v20
	v_pk_mov_b32 v[20:21], v[60:61], v[60:61] op_sel:[0,1]
	v_accvgpr_mov_b32 a146, a162
	v_accvgpr_mov_b32 a147, a163
	v_accvgpr_mov_b32 a148, a164
	v_accvgpr_mov_b32 a149, a165
	v_accvgpr_mov_b32 a150, a166
	v_accvgpr_mov_b32 a151, a167
	v_accvgpr_mov_b32 a152, a168
	v_accvgpr_mov_b32 a153, a169
	v_accvgpr_mov_b32 a154, a170
	v_accvgpr_mov_b32 a155, a171
	v_accvgpr_mov_b32 a156, a172
	v_accvgpr_mov_b32 a157, a173
	v_accvgpr_mov_b32 a158, a174
	v_accvgpr_mov_b32 a159, a175
	v_accvgpr_write_b32 a46, v238
	v_accvgpr_write_b32 a47, v239
	;; [unrolled: 1-line block ×18, first 2 shown]
	v_pk_mov_b32 v[168:169], v[136:137], v[136:137] op_sel:[0,1]
	v_pk_mov_b32 v[166:167], v[134:135], v[134:135] op_sel:[0,1]
	;; [unrolled: 1-line block ×11, first 2 shown]
.LBB18_14:
	s_or_b64 exec, exec, s[4:5]
	v_accvgpr_write_b32 a193, v65
	v_cmp_lt_f64_e32 vcc, v[46:47], v[8:9]
	v_pk_mov_b32 v[176:177], v[46:47], v[46:47] op_sel:[0,1]
	v_accvgpr_write_b32 a192, v64
	s_and_saveexec_b64 s[4:5], vcc
	s_cbranch_execz .LBB18_16
; %bb.15:
	v_accvgpr_mov_b32 a144, a224
	v_accvgpr_mov_b32 a145, a225
	;; [unrolled: 1-line block ×10, first 2 shown]
	v_accvgpr_write_b32 a154, v236
	v_accvgpr_write_b32 a155, v237
	;; [unrolled: 1-line block ×8, first 2 shown]
	v_accvgpr_mov_b32 a128, a144
	v_accvgpr_mov_b32 a0, a224
	v_accvgpr_write_b32 a192, v236
	v_mov_b32_e32 v192, v46
	v_mov_b32_e32 v193, v47
	;; [unrolled: 1-line block ×4, first 2 shown]
	v_accvgpr_mov_b32 a32, a224
	v_accvgpr_mov_b32 a33, a225
	;; [unrolled: 1-line block ×10, first 2 shown]
	v_accvgpr_write_b32 a42, v236
	v_accvgpr_write_b32 a43, v237
	;; [unrolled: 1-line block ×4, first 2 shown]
	v_accvgpr_mov_b32 a64, a224
	v_accvgpr_mov_b32 a65, a225
	;; [unrolled: 1-line block ×10, first 2 shown]
	v_accvgpr_write_b32 a74, v236
	v_accvgpr_write_b32 a75, v237
	;; [unrolled: 1-line block ×6, first 2 shown]
	v_accvgpr_read_b32 v22, a224
	v_accvgpr_read_b32 v23, a225
	v_accvgpr_read_b32 v24, a226
	v_accvgpr_read_b32 v25, a227
	v_accvgpr_read_b32 v26, a228
	v_accvgpr_read_b32 v27, a229
	v_accvgpr_read_b32 v28, a230
	v_accvgpr_read_b32 v29, a231
	v_accvgpr_read_b32 v30, a232
	v_accvgpr_read_b32 v31, a233
	v_mov_b32_e32 v32, v236
	v_mov_b32_e32 v33, v237
	;; [unrolled: 1-line block ×6, first 2 shown]
	v_accvgpr_read_b32 v38, a160
	v_accvgpr_read_b32 v39, a161
	v_mov_b32_e32 v40, v72
	v_mov_b32_e32 v41, v73
	v_mov_b32_e32 v42, v74
	v_mov_b32_e32 v43, v75
	v_accvgpr_mov_b32 a129, a145
	v_accvgpr_mov_b32 a130, a146
	;; [unrolled: 1-line block ×28, first 2 shown]
	v_pk_mov_b32 v[176:177], v[8:9], v[8:9] op_sel:[0,1]
	v_pk_mov_b32 v[8:9], v[46:47], v[46:47] op_sel:[0,1]
	v_accvgpr_write_b32 a193, v237
	v_pk_mov_b32 v[236:237], v[64:65], v[64:65] op_sel:[0,1]
	v_accvgpr_mov_b32 a146, a162
	v_accvgpr_mov_b32 a147, a163
	;; [unrolled: 1-line block ×34, first 2 shown]
.LBB18_16:
	s_or_b64 exec, exec, s[4:5]
	v_accvgpr_write_b32 a181, v69
	v_cmp_lt_f64_e32 vcc, v[48:49], v[58:59]
	v_pk_mov_b32 v[178:179], v[48:49], v[48:49] op_sel:[0,1]
	v_accvgpr_write_b32 a180, v68
	s_and_saveexec_b64 s[4:5], vcc
	s_cbranch_execz .LBB18_18
; %bb.17:
	v_accvgpr_mov_b32 a181, a161
	v_accvgpr_mov_b32 a46, a160
	;; [unrolled: 1-line block ×5, first 2 shown]
	v_accvgpr_read_b32 v36, a160
	v_accvgpr_read_b32 v37, a161
	v_accvgpr_mov_b32 a95, a63
	v_accvgpr_mov_b32 a180, a160
	v_accvgpr_write_b32 a161, v69
	v_mov_b32_e32 v196, v48
	v_mov_b32_e32 v197, v49
	;; [unrolled: 1-line block ×4, first 2 shown]
	v_accvgpr_mov_b32 a128, a32
	v_accvgpr_mov_b32 a129, a33
	;; [unrolled: 1-line block ×14, first 2 shown]
	v_accvgpr_write_b32 a144, v68
	v_accvgpr_write_b32 a145, v69
	v_accvgpr_read_b32 v22, a32
	v_accvgpr_read_b32 v23, a33
	v_accvgpr_read_b32 v24, a34
	v_accvgpr_read_b32 v25, a35
	v_accvgpr_read_b32 v26, a36
	v_accvgpr_read_b32 v27, a37
	v_accvgpr_read_b32 v28, a38
	v_accvgpr_read_b32 v29, a39
	v_accvgpr_read_b32 v30, a40
	v_accvgpr_read_b32 v31, a41
	v_accvgpr_read_b32 v32, a42
	v_accvgpr_read_b32 v33, a43
	v_accvgpr_read_b32 v34, a44
	v_accvgpr_read_b32 v35, a45
	v_mov_b32_e32 v38, v68
	v_mov_b32_e32 v39, v69
	;; [unrolled: 1-line block ×6, first 2 shown]
	v_accvgpr_mov_b32 a79, a47
	v_accvgpr_mov_b32 a78, a46
	v_accvgpr_mov_b32 a77, a45
	v_accvgpr_mov_b32 a76, a44
	v_accvgpr_mov_b32 a75, a43
	v_accvgpr_mov_b32 a74, a42
	v_accvgpr_mov_b32 a73, a41
	v_accvgpr_mov_b32 a72, a40
	v_accvgpr_mov_b32 a71, a39
	v_accvgpr_mov_b32 a70, a38
	v_accvgpr_mov_b32 a69, a37
	v_accvgpr_mov_b32 a68, a36
	v_accvgpr_mov_b32 a67, a35
	v_accvgpr_mov_b32 a66, a34
	v_accvgpr_mov_b32 a65, a33
	v_accvgpr_mov_b32 a64, a32
	v_pk_mov_b32 v[178:179], v[58:59], v[58:59] op_sel:[0,1]
	v_pk_mov_b32 v[58:59], v[48:49], v[48:49] op_sel:[0,1]
	v_accvgpr_write_b32 a160, v68
	v_accvgpr_mov_b32 a94, a62
	v_accvgpr_mov_b32 a93, a61
	v_accvgpr_mov_b32 a92, a60
	v_accvgpr_mov_b32 a91, a59
	v_accvgpr_mov_b32 a90, a58
	v_accvgpr_mov_b32 a89, a57
	v_accvgpr_mov_b32 a88, a56
	v_accvgpr_mov_b32 a87, a55
	v_accvgpr_mov_b32 a86, a54
	v_accvgpr_mov_b32 a85, a53
	v_accvgpr_mov_b32 a84, a52
	v_accvgpr_mov_b32 a83, a51
	v_accvgpr_mov_b32 a82, a50
	v_accvgpr_mov_b32 a81, a49
	v_accvgpr_mov_b32 a80, a48
.LBB18_18:
	s_or_b64 exec, exec, s[4:5]
	v_accvgpr_write_b32 a221, v73
	v_pk_mov_b32 v[10:11], v[202:203], v[202:203] op_sel:[0,1]
	v_cmp_lt_f64_e32 vcc, v[202:203], v[172:173]
	v_pk_mov_b32 v[180:181], v[202:203], v[202:203] op_sel:[0,1]
	v_accvgpr_write_b32 a220, v72
	s_and_saveexec_b64 s[4:5], vcc
	s_cbranch_execz .LBB18_20
; %bb.19:
	v_accvgpr_write_b32 a146, v74
	v_accvgpr_write_b32 a147, v75
	;; [unrolled: 1-line block ×4, first 2 shown]
	v_accvgpr_read_b32 v22, a128
	v_accvgpr_write_b32 a221, v75
	v_mov_b32_e32 v200, v10
	v_mov_b32_e32 v201, v11
	;; [unrolled: 1-line block ×4, first 2 shown]
	v_accvgpr_read_b32 v23, a129
	v_accvgpr_read_b32 v24, a130
	;; [unrolled: 1-line block ×21, first 2 shown]
	v_pk_mov_b32 v[180:181], v[172:173], v[172:173] op_sel:[0,1]
	v_pk_mov_b32 v[172:173], v[10:11], v[10:11] op_sel:[0,1]
	v_accvgpr_write_b32 a220, v74
	v_pk_mov_b32 v[74:75], v[72:73], v[72:73] op_sel:[0,1]
	v_accvgpr_read_b32 v44, a150
	v_accvgpr_read_b32 v45, a151
	;; [unrolled: 1-line block ×10, first 2 shown]
.LBB18_20:
	s_or_b64 exec, exec, s[4:5]
	v_cmp_lt_f64_e32 vcc, v[2:3], v[78:79]
	v_pk_mov_b32 v[90:91], v[78:79], v[78:79] op_sel:[0,1]
	v_pk_mov_b32 v[10:11], v[54:55], v[54:55] op_sel:[0,1]
	s_and_saveexec_b64 s[4:5], vcc
	s_cbranch_execz .LBB18_22
; %bb.21:
	v_accvgpr_mov_b32 a182, a162
	v_accvgpr_mov_b32 a166, a162
	;; [unrolled: 1-line block ×4, first 2 shown]
	v_accvgpr_write_b32 a146, v54
	v_accvgpr_write_b32 a147, v55
	;; [unrolled: 1-line block ×4, first 2 shown]
	v_accvgpr_mov_b32 a150, a200
	v_accvgpr_mov_b32 a151, a201
	v_accvgpr_write_b32 a152, v20
	v_accvgpr_write_b32 a153, v21
	v_accvgpr_mov_b32 a154, a192
	v_accvgpr_mov_b32 a155, a193
	v_accvgpr_write_b32 a156, v236
	v_accvgpr_write_b32 a157, v237
	;; [unrolled: 4-line block ×4, first 2 shown]
	v_accvgpr_write_b32 a198, v6
	v_accvgpr_write_b32 a199, v7
	v_accvgpr_mov_b32 a183, a163
	v_accvgpr_write_b32 a184, v54
	v_accvgpr_write_b32 a185, v55
	;; [unrolled: 1-line block ×4, first 2 shown]
	v_accvgpr_mov_b32 a188, a200
	v_accvgpr_mov_b32 a189, a201
	v_accvgpr_write_b32 a190, v20
	v_accvgpr_write_b32 a191, v21
	v_accvgpr_mov_b32 a167, a163
	v_accvgpr_write_b32 a168, v54
	v_accvgpr_write_b32 a169, v55
	;; [unrolled: 1-line block ×4, first 2 shown]
	v_accvgpr_mov_b32 a172, a200
	v_accvgpr_mov_b32 a173, a201
	v_accvgpr_write_b32 a174, v20
	v_accvgpr_write_b32 a175, v21
	v_accvgpr_mov_b32 a176, a192
	v_accvgpr_mov_b32 a177, a193
	v_accvgpr_write_b32 a178, v236
	v_accvgpr_write_b32 a179, v237
	;; [unrolled: 4-line block ×3, first 2 shown]
	v_accvgpr_write_b32 a206, v6
	v_accvgpr_write_b32 a207, v7
	v_accvgpr_mov_b32 a208, a200
	v_accvgpr_mov_b32 a209, a201
	v_accvgpr_write_b32 a210, v20
	v_accvgpr_write_b32 a211, v21
	v_accvgpr_mov_b32 a212, a192
	v_accvgpr_mov_b32 a213, a193
	v_accvgpr_mov_b32 a128, a144
	v_accvgpr_mov_b32 a64, a166
	v_accvgpr_mov_b32 a0, a182
	v_accvgpr_read_b32 v108, a162
	v_accvgpr_read_b32 v109, a163
	;; [unrolled: 1-line block ×8, first 2 shown]
	v_accvgpr_mov_b32 a216, a180
	v_accvgpr_mov_b32 a217, a181
	;; [unrolled: 1-line block ×95, first 2 shown]
	buffer_store_dword a162, off, s[8:11], 0 offset:128 ; 4-byte Folded Spill
	s_nop 0
	buffer_store_dword a163, off, s[8:11], 0 offset:132 ; 4-byte Folded Spill
	buffer_store_dword a164, off, s[8:11], 0 offset:136 ; 4-byte Folded Spill
	;; [unrolled: 1-line block ×31, first 2 shown]
	buffer_store_dword a162, off, s[8:11], 0 ; 4-byte Folded Spill
	s_nop 0
	buffer_store_dword a163, off, s[8:11], 0 offset:4 ; 4-byte Folded Spill
	buffer_store_dword a164, off, s[8:11], 0 offset:8 ; 4-byte Folded Spill
	;; [unrolled: 1-line block ×31, first 2 shown]
	v_accvgpr_write_b32 a214, v236
	v_accvgpr_write_b32 a215, v237
	v_accvgpr_mov_b32 a218, a160
	v_accvgpr_mov_b32 a219, a161
	v_accvgpr_write_b32 a222, v74
	v_accvgpr_write_b32 a223, v75
	v_accvgpr_read_b32 v22, a202
	v_accvgpr_read_b32 v43, a223
	v_mov_b32_e32 v14, v54
	v_mov_b32_e32 v15, v55
	;; [unrolled: 1-line block ×4, first 2 shown]
	v_accvgpr_read_b32 v18, a200
	v_accvgpr_read_b32 v19, a201
	;; [unrolled: 1-line block ×32, first 2 shown]
	v_accvgpr_write_b32 a255, v43
	v_mov_b32_e32 v76, v2
	v_mov_b32_e32 v77, v3
	;; [unrolled: 1-line block ×3, first 2 shown]
	v_accvgpr_read_b32 v10, a162
	v_mov_b32_e32 v81, v187
	v_mov_b32_e32 v82, v188
	;; [unrolled: 1-line block ×21, first 2 shown]
	v_accvgpr_read_b32 v230, a200
	v_accvgpr_read_b32 v231, a201
	v_mov_b32_e32 v232, v20
	v_mov_b32_e32 v233, v21
	v_accvgpr_write_b32 a32, v224
	v_accvgpr_write_b32 a225, v13
	v_accvgpr_write_b32 a224, v12
	v_accvgpr_read_b32 v140, a194
	v_pk_mov_b32 v[212:213], v[106:107], v[106:107] op_sel:[0,1]
	v_accvgpr_read_b32 v11, a163
	v_accvgpr_write_b32 a163, v55
	v_mov_b32_e32 v110, v54
	v_mov_b32_e32 v111, v55
	;; [unrolled: 1-line block ×4, first 2 shown]
	v_accvgpr_write_b32 a33, v225
	v_accvgpr_write_b32 a34, v226
	;; [unrolled: 1-line block ×21, first 2 shown]
	v_accvgpr_read_b32 v141, a195
	v_accvgpr_read_b32 v142, a196
	;; [unrolled: 1-line block ×7, first 2 shown]
	v_pk_mov_b32 v[210:211], v[104:105], v[104:105] op_sel:[0,1]
	v_pk_mov_b32 v[208:209], v[102:103], v[102:103] op_sel:[0,1]
	;; [unrolled: 1-line block ×17, first 2 shown]
	v_accvgpr_write_b32 a162, v54
	v_accvgpr_write_b32 a46, v238
	;; [unrolled: 1-line block ×40, first 2 shown]
	v_accvgpr_read_b32 v148, a202
	v_accvgpr_read_b32 v149, a203
	;; [unrolled: 1-line block ×24, first 2 shown]
.LBB18_22:
	s_or_b64 exec, exec, s[4:5]
	v_cmp_lt_f64_e32 vcc, v[0:1], v[174:175]
	v_pk_mov_b32 v[76:77], v[0:1], v[0:1] op_sel:[0,1]
	v_pk_mov_b32 v[86:87], v[6:7], v[6:7] op_sel:[0,1]
	s_and_saveexec_b64 s[4:5], vcc
	s_cbranch_execz .LBB18_24
; %bb.23:
	buffer_load_dword v108, off, s[8:11], 0 offset:128 ; 4-byte Folded Reload
	buffer_load_dword v109, off, s[8:11], 0 offset:132 ; 4-byte Folded Reload
	;; [unrolled: 1-line block ×32, first 2 shown]
	v_accvgpr_mov_b32 a206, a200
	v_accvgpr_mov_b32 a207, a201
	v_accvgpr_write_b32 a208, v6
	v_accvgpr_write_b32 a209, v7
	;; [unrolled: 1-line block ×4, first 2 shown]
	v_accvgpr_mov_b32 a212, a192
	v_accvgpr_mov_b32 a213, a193
	v_accvgpr_write_b32 a214, v236
	v_accvgpr_write_b32 a215, v237
	v_accvgpr_mov_b32 a216, a180
	v_accvgpr_mov_b32 a217, a181
	;; [unrolled: 1-line block ×4, first 2 shown]
	v_accvgpr_write_b32 a222, v74
	v_accvgpr_write_b32 a223, v75
	v_accvgpr_read_b32 v16, a200
	v_accvgpr_read_b32 v17, a201
	v_mov_b32_e32 v18, v6
	v_mov_b32_e32 v19, v7
	v_accvgpr_mov_b32 a186, a200
	v_accvgpr_mov_b32 a187, a201
	v_accvgpr_write_b32 a188, v6
	v_accvgpr_write_b32 a189, v7
	;; [unrolled: 1-line block ×4, first 2 shown]
	v_accvgpr_mov_b32 a148, a200
	v_accvgpr_mov_b32 a149, a201
	v_accvgpr_write_b32 a150, v6
	v_accvgpr_write_b32 a151, v7
	;; [unrolled: 1-line block ×4, first 2 shown]
	v_accvgpr_mov_b32 a154, a192
	v_accvgpr_mov_b32 a155, a193
	v_accvgpr_write_b32 a156, v236
	v_accvgpr_write_b32 a157, v237
	v_accvgpr_mov_b32 a158, a180
	v_accvgpr_mov_b32 a159, a181
	v_accvgpr_read_b32 v86, a200
	s_waitcnt vmcnt(27)
	v_accvgpr_read_b32 v112, a200
	s_waitcnt vmcnt(26)
	v_accvgpr_read_b32 v113, a201
	v_accvgpr_read_b32 v144, a200
	;; [unrolled: 1-line block ×5, first 2 shown]
	v_mov_b32_e32 v230, v6
	v_mov_b32_e32 v231, v7
	;; [unrolled: 1-line block ×4, first 2 shown]
	v_accvgpr_read_b32 v234, a192
	v_accvgpr_read_b32 v235, a193
	v_accvgpr_mov_b32 a170, a200
	v_accvgpr_mov_b32 a171, a201
	v_accvgpr_write_b32 a172, v6
	v_accvgpr_write_b32 a173, v7
	;; [unrolled: 1-line block ×4, first 2 shown]
	v_accvgpr_mov_b32 a176, a192
	v_accvgpr_mov_b32 a177, a193
	v_accvgpr_write_b32 a178, v236
	v_accvgpr_write_b32 a179, v237
	v_accvgpr_read_b32 v87, a201
	v_mov_b32_e32 v186, v0
	v_mov_b32_e32 v187, v1
	;; [unrolled: 1-line block ×6, first 2 shown]
	v_pk_mov_b32 v[76:77], v[174:175], v[174:175] op_sel:[0,1]
	v_pk_mov_b32 v[174:175], v[0:1], v[0:1] op_sel:[0,1]
	v_accvgpr_write_b32 a202, v108
	v_accvgpr_write_b32 a203, v109
	;; [unrolled: 1-line block ×4, first 2 shown]
	v_accvgpr_read_b32 v22, a202
	v_accvgpr_write_b32 a182, v108
	v_accvgpr_read_b32 v43, a223
	v_mov_b32_e32 v12, v108
	v_mov_b32_e32 v13, v109
	;; [unrolled: 1-line block ×4, first 2 shown]
	v_accvgpr_write_b32 a183, v109
	v_accvgpr_write_b32 a184, v110
	;; [unrolled: 1-line block ×3, first 2 shown]
	v_mov_b32_e32 v224, v108
	v_accvgpr_write_b32 a166, v108
	v_accvgpr_write_b32 a144, v108
	;; [unrolled: 1-line block ×5, first 2 shown]
	v_accvgpr_read_b32 v23, a203
	v_accvgpr_read_b32 v24, a204
	;; [unrolled: 1-line block ×30, first 2 shown]
	v_accvgpr_mov_b32 a0, a182
	v_accvgpr_write_b32 a255, v43
	v_mov_b32_e32 v225, v109
	v_mov_b32_e32 v226, v110
	;; [unrolled: 1-line block ×3, first 2 shown]
	v_accvgpr_write_b32 a167, v109
	v_accvgpr_write_b32 a168, v110
	v_accvgpr_write_b32 a169, v111
	v_accvgpr_mov_b32 a128, a144
	v_accvgpr_mov_b32 a64, a166
	v_accvgpr_write_b32 a32, v224
	v_accvgpr_mov_b32 a1, a183
	v_accvgpr_mov_b32 a2, a184
	;; [unrolled: 1-line block ×31, first 2 shown]
	v_accvgpr_write_b32 a254, v42
	v_accvgpr_write_b32 a253, v41
	;; [unrolled: 1-line block ×31, first 2 shown]
	v_pk_mov_b32 v[12:13], v[108:109], v[108:109] op_sel:[0,1]
	v_accvgpr_write_b32 a201, v7
	v_mov_b32_e32 v140, v108
	v_mov_b32_e32 v141, v109
	;; [unrolled: 1-line block ×4, first 2 shown]
	v_accvgpr_mov_b32 a129, a145
	v_accvgpr_mov_b32 a130, a146
	;; [unrolled: 1-line block ×32, first 2 shown]
	v_accvgpr_write_b32 a33, v225
	v_accvgpr_write_b32 a34, v226
	;; [unrolled: 1-line block ×13, first 2 shown]
	v_pk_mov_b32 v[14:15], v[110:111], v[110:111] op_sel:[0,1]
	v_accvgpr_write_b32 a200, v6
	v_accvgpr_mov_b32 a146, a162
	v_accvgpr_mov_b32 a147, a163
	;; [unrolled: 1-line block ×30, first 2 shown]
	v_accvgpr_write_b32 a46, v238
	v_accvgpr_write_b32 a47, v239
	;; [unrolled: 1-line block ×18, first 2 shown]
	buffer_store_dword v12, off, s[8:11], 0 offset:128 ; 4-byte Folded Spill
	s_nop 0
	buffer_store_dword v13, off, s[8:11], 0 offset:132 ; 4-byte Folded Spill
	buffer_store_dword v14, off, s[8:11], 0 offset:136 ; 4-byte Folded Spill
	;; [unrolled: 1-line block ×31, first 2 shown]
.LBB18_24:
	s_or_b64 exec, exec, s[4:5]
	v_accvgpr_write_b32 a123, v21
	v_cmp_lt_f64_e32 vcc, v[8:9], v[4:5]
	v_pk_mov_b32 v[78:79], v[8:9], v[8:9] op_sel:[0,1]
	v_accvgpr_write_b32 a122, v20
	s_and_saveexec_b64 s[4:5], vcc
	s_cbranch_execz .LBB18_26
; %bb.25:
	v_accvgpr_write_b32 a166, v140
	v_accvgpr_write_b32 a202, v140
	v_mov_b32_e32 v224, v140
	v_accvgpr_write_b32 a167, v141
	v_accvgpr_write_b32 a168, v142
	;; [unrolled: 1-line block ×7, first 2 shown]
	v_accvgpr_mov_b32 a174, a192
	v_accvgpr_mov_b32 a175, a193
	v_accvgpr_write_b32 a176, v20
	v_accvgpr_write_b32 a177, v21
	;; [unrolled: 1-line block ×12, first 2 shown]
	v_accvgpr_mov_b32 a152, a192
	v_accvgpr_mov_b32 a153, a193
	v_accvgpr_write_b32 a154, v20
	v_accvgpr_write_b32 a155, v21
	v_accvgpr_write_b32 a156, v236
	v_accvgpr_write_b32 a157, v237
	v_accvgpr_mov_b32 a158, a180
	v_accvgpr_mov_b32 a159, a181
	v_accvgpr_write_b32 a203, v141
	v_accvgpr_write_b32 a204, v142
	;; [unrolled: 1-line block ×7, first 2 shown]
	v_accvgpr_mov_b32 a210, a192
	v_accvgpr_mov_b32 a211, a193
	v_accvgpr_write_b32 a212, v20
	v_accvgpr_write_b32 a213, v21
	;; [unrolled: 1-line block ×4, first 2 shown]
	v_accvgpr_mov_b32 a216, a180
	v_accvgpr_mov_b32 a217, a181
	;; [unrolled: 1-line block ×4, first 2 shown]
	v_accvgpr_write_b32 a222, v74
	v_accvgpr_write_b32 a223, v75
	v_accvgpr_read_b32 v22, a202
	v_accvgpr_mov_b32 a64, a166
	v_accvgpr_mov_b32 a122, a192
	v_accvgpr_read_b32 v148, a192
	v_accvgpr_read_b32 v149, a193
	v_accvgpr_mov_b32 a8, a192
	v_accvgpr_mov_b32 a9, a193
	v_mov_b32_e32 v225, v141
	v_mov_b32_e32 v226, v142
	v_mov_b32_e32 v227, v143
	v_mov_b32_e32 v228, v144
	v_mov_b32_e32 v229, v145
	v_mov_b32_e32 v230, v146
	v_mov_b32_e32 v231, v147
	v_accvgpr_read_b32 v232, a192
	v_accvgpr_read_b32 v233, a193
	v_mov_b32_e32 v234, v20
	v_mov_b32_e32 v235, v21
	v_accvgpr_read_b32 v23, a203
	v_accvgpr_read_b32 v24, a204
	;; [unrolled: 1-line block ×31, first 2 shown]
	v_accvgpr_mov_b32 a128, a144
	v_accvgpr_mov_b32 a65, a167
	;; [unrolled: 1-line block ×32, first 2 shown]
	v_accvgpr_write_b32 a32, v224
	v_accvgpr_write_b32 a255, v171
	v_accvgpr_mov_b32 a123, a193
	v_accvgpr_write_b32 a193, v21
	v_mov_b32_e32 v190, v8
	v_mov_b32_e32 v191, v9
	;; [unrolled: 1-line block ×4, first 2 shown]
	v_accvgpr_write_b32 a0, v140
	v_accvgpr_write_b32 a1, v141
	;; [unrolled: 1-line block ×10, first 2 shown]
	v_accvgpr_mov_b32 a129, a145
	v_accvgpr_mov_b32 a130, a146
	;; [unrolled: 1-line block ×17, first 2 shown]
	v_accvgpr_write_b32 a33, v225
	v_accvgpr_write_b32 a34, v226
	;; [unrolled: 1-line block ×23, first 2 shown]
	v_pk_mov_b32 v[78:79], v[4:5], v[4:5] op_sel:[0,1]
	v_pk_mov_b32 v[4:5], v[8:9], v[8:9] op_sel:[0,1]
	v_accvgpr_write_b32 a192, v20
	v_accvgpr_mov_b32 a146, a162
	v_accvgpr_mov_b32 a147, a163
	;; [unrolled: 1-line block ×14, first 2 shown]
	v_accvgpr_write_b32 a46, v238
	v_accvgpr_write_b32 a47, v239
	;; [unrolled: 1-line block ×39, first 2 shown]
.LBB18_26:
	s_or_b64 exec, exec, s[4:5]
	v_accvgpr_write_b32 a112, v236
	v_cmp_lt_f64_e32 vcc, v[58:59], v[176:177]
	v_pk_mov_b32 v[80:81], v[58:59], v[58:59] op_sel:[0,1]
	v_accvgpr_write_b32 a113, v237
	s_and_saveexec_b64 s[4:5], vcc
	s_cbranch_execz .LBB18_28
; %bb.27:
	v_accvgpr_mov_b32 a144, a0
	v_accvgpr_mov_b32 a145, a1
	;; [unrolled: 1-line block ×14, first 2 shown]
	v_accvgpr_write_b32 a158, v236
	v_accvgpr_write_b32 a159, v237
	v_accvgpr_mov_b32 a202, a0
	v_accvgpr_mov_b32 a112, a180
	;; [unrolled: 1-line block ×19, first 2 shown]
	v_accvgpr_write_b32 a216, v236
	v_accvgpr_write_b32 a217, v237
	v_accvgpr_mov_b32 a218, a160
	v_accvgpr_mov_b32 a219, a161
	v_accvgpr_write_b32 a222, v74
	v_accvgpr_write_b32 a223, v75
	v_accvgpr_read_b32 v22, a202
	v_accvgpr_mov_b32 a128, a144
	v_accvgpr_mov_b32 a63, a31
	;; [unrolled: 1-line block ×3, first 2 shown]
	v_accvgpr_write_b32 a180, v236
	v_mov_b32_e32 v194, v58
	v_mov_b32_e32 v195, v59
	;; [unrolled: 1-line block ×4, first 2 shown]
	v_accvgpr_mov_b32 a64, a0
	v_accvgpr_mov_b32 a65, a1
	;; [unrolled: 1-line block ×12, first 2 shown]
	v_accvgpr_write_b32 a78, v236
	v_accvgpr_write_b32 a79, v237
	v_accvgpr_read_b32 v23, a203
	v_accvgpr_read_b32 v24, a204
	;; [unrolled: 1-line block ×21, first 2 shown]
	v_accvgpr_mov_b32 a129, a145
	v_accvgpr_mov_b32 a130, a146
	;; [unrolled: 1-line block ×31, first 2 shown]
	v_pk_mov_b32 v[80:81], v[176:177], v[176:177] op_sel:[0,1]
	v_pk_mov_b32 v[176:177], v[58:59], v[58:59] op_sel:[0,1]
	v_accvgpr_write_b32 a181, v237
	v_accvgpr_read_b32 v44, a224
	v_accvgpr_read_b32 v45, a225
	;; [unrolled: 1-line block ×10, first 2 shown]
	v_accvgpr_mov_b32 a146, a162
	v_accvgpr_mov_b32 a147, a163
	;; [unrolled: 1-line block ×31, first 2 shown]
.LBB18_28:
	s_or_b64 exec, exec, s[4:5]
	v_accvgpr_mov_b32 a96, a160
	v_cmp_lt_f64_e32 vcc, v[172:173], v[178:179]
	v_pk_mov_b32 v[82:83], v[172:173], v[172:173] op_sel:[0,1]
	v_accvgpr_mov_b32 a97, a161
	s_and_saveexec_b64 s[4:5], vcc
	s_cbranch_execz .LBB18_30
; %bb.29:
	v_accvgpr_read_b32 v54, a64
	v_accvgpr_read_b32 v55, a65
	v_accvgpr_mov_b32 a96, a220
	v_accvgpr_mov_b32 a80, a220
	;; [unrolled: 1-line block ×3, first 2 shown]
	v_accvgpr_read_b32 v56, a66
	v_accvgpr_read_b32 v57, a67
	;; [unrolled: 1-line block ×18, first 2 shown]
	v_pk_mov_b32 v[22:23], v[54:55], v[54:55] op_sel:[0,1]
	v_accvgpr_mov_b32 a159, a95
	v_accvgpr_mov_b32 a97, a221
	;; [unrolled: 1-line block ×3, first 2 shown]
	v_mov_b32_e32 v198, v172
	v_mov_b32_e32 v199, v173
	;; [unrolled: 1-line block ×4, first 2 shown]
	v_pk_mov_b32 v[24:25], v[56:57], v[56:57] op_sel:[0,1]
	v_pk_mov_b32 v[26:27], v[58:59], v[58:59] op_sel:[0,1]
	;; [unrolled: 1-line block ×15, first 2 shown]
	v_accvgpr_mov_b32 a145, a81
	v_accvgpr_mov_b32 a144, a80
	;; [unrolled: 1-line block ×18, first 2 shown]
	v_pk_mov_b32 v[82:83], v[178:179], v[178:179] op_sel:[0,1]
	v_pk_mov_b32 v[178:179], v[172:173], v[172:173] op_sel:[0,1]
	v_accvgpr_mov_b32 a220, a160
	v_accvgpr_mov_b32 a158, a94
	;; [unrolled: 1-line block ×14, first 2 shown]
.LBB18_30:
	s_or_b64 exec, exec, s[4:5]
	v_accvgpr_read_b32 v8, a162
	v_cmp_lt_f64_e32 vcc, v[174:175], v[2:3]
	v_pk_mov_b32 v[172:173], v[174:175], v[174:175] op_sel:[0,1]
	v_accvgpr_read_b32 v9, a163
	s_and_saveexec_b64 s[4:5], vcc
	s_cbranch_execz .LBB18_32
; %bb.31:
	buffer_load_dword v12, off, s[8:11], 0  ; 4-byte Folded Reload
	buffer_load_dword v13, off, s[8:11], 0 offset:4 ; 4-byte Folded Reload
	buffer_load_dword v14, off, s[8:11], 0 offset:8 ; 4-byte Folded Reload
	;; [unrolled: 1-line block ×31, first 2 shown]
	v_accvgpr_write_b32 a204, v86
	v_accvgpr_write_b32 a205, v87
	v_accvgpr_mov_b32 a206, a162
	v_accvgpr_mov_b32 a207, a163
	;; [unrolled: 1-line block ×14, first 2 shown]
	v_accvgpr_write_b32 a222, v74
	v_accvgpr_write_b32 a223, v75
	v_mov_b32_e32 v8, v86
	v_mov_b32_e32 v9, v87
	;; [unrolled: 1-line block ×4, first 2 shown]
	v_accvgpr_mov_b32 a111, a193
	v_accvgpr_write_b32 a102, v86
	v_accvgpr_write_b32 a103, v87
	v_accvgpr_mov_b32 a104, a162
	v_accvgpr_mov_b32 a105, a163
	;; [unrolled: 1-line block ×7, first 2 shown]
	v_accvgpr_write_b32 a82, v86
	v_accvgpr_write_b32 a83, v87
	v_accvgpr_mov_b32 a84, a162
	v_accvgpr_mov_b32 a85, a163
	;; [unrolled: 1-line block ×12, first 2 shown]
	v_accvgpr_read_b32 v88, a162
	v_accvgpr_read_b32 v89, a163
	v_accvgpr_write_b32 a116, v86
	v_accvgpr_write_b32 a117, v87
	v_accvgpr_mov_b32 a118, a162
	v_accvgpr_mov_b32 a119, a163
	;; [unrolled: 1-line block ×4, first 2 shown]
	v_accvgpr_write_b32 a196, v86
	v_accvgpr_write_b32 a197, v87
	v_accvgpr_mov_b32 a198, a162
	v_accvgpr_mov_b32 a199, a163
	v_accvgpr_write_b32 a184, v86
	v_accvgpr_write_b32 a185, v87
	v_accvgpr_mov_b32 a186, a162
	v_accvgpr_mov_b32 a187, a163
	;; [unrolled: 1-line block ×6, first 2 shown]
	v_accvgpr_write_b32 a168, v86
	v_accvgpr_write_b32 a169, v87
	v_accvgpr_mov_b32 a170, a162
	v_accvgpr_mov_b32 a171, a163
	;; [unrolled: 1-line block ×10, first 2 shown]
	v_mov_b32_e32 v184, v174
	s_waitcnt vmcnt(30)
	v_pk_mov_b32 v[6:7], v[12:13], v[12:13] op_sel:[0,1]
	v_accvgpr_write_b32 a202, v6
	v_accvgpr_write_b32 a203, v7
	s_waitcnt vmcnt(0)
	v_accvgpr_read_b32 v22, a202
	v_accvgpr_read_b32 v23, a203
	;; [unrolled: 1-line block ×16, first 2 shown]
	v_pk_mov_b32 v[0:1], v[12:13], v[12:13] op_sel:[0,1]
	v_mov_b32_e32 v84, v6
	v_mov_b32_e32 v85, v7
	v_accvgpr_write_b32 a194, v6
	v_accvgpr_write_b32 a195, v7
	;; [unrolled: 1-line block ×12, first 2 shown]
	buffer_store_dword v0, off, s[8:11], 0  ; 4-byte Folded Spill
	s_nop 0
	buffer_store_dword v1, off, s[8:11], 0 offset:4 ; 4-byte Folded Spill
	buffer_store_dword v2, off, s[8:11], 0 offset:8 ; 4-byte Folded Spill
	;; [unrolled: 1-line block ×32, first 2 shown]
	s_nop 0
	buffer_store_dword v7, off, s[8:11], 0 offset:132 ; 4-byte Folded Spill
	buffer_store_dword v8, off, s[8:11], 0 offset:136 ; 4-byte Folded Spill
	;; [unrolled: 1-line block ×31, first 2 shown]
	v_accvgpr_mov_b32 a159, a111
	v_accvgpr_mov_b32 a145, a97
	v_accvgpr_read_b32 v38, a218
	v_accvgpr_read_b32 v39, a219
	;; [unrolled: 1-line block ×16, first 2 shown]
	v_accvgpr_mov_b32 a144, a96
	v_accvgpr_mov_b32 a143, a95
	;; [unrolled: 1-line block ×18, first 2 shown]
	v_pk_mov_b32 v[138:139], v[114:115], v[114:115] op_sel:[0,1]
	v_accvgpr_mov_b32 a158, a110
	v_accvgpr_mov_b32 a157, a109
	;; [unrolled: 1-line block ×18, first 2 shown]
	v_accvgpr_read_b32 v140, a194
	v_pk_mov_b32 v[136:137], v[112:113], v[112:113] op_sel:[0,1]
	v_pk_mov_b32 v[134:135], v[110:111], v[110:111] op_sel:[0,1]
	v_pk_mov_b32 v[132:133], v[108:109], v[108:109] op_sel:[0,1]
	v_pk_mov_b32 v[130:131], v[106:107], v[106:107] op_sel:[0,1]
	v_pk_mov_b32 v[128:129], v[104:105], v[104:105] op_sel:[0,1]
	v_pk_mov_b32 v[126:127], v[102:103], v[102:103] op_sel:[0,1]
	v_pk_mov_b32 v[124:125], v[100:101], v[100:101] op_sel:[0,1]
	v_pk_mov_b32 v[122:123], v[98:99], v[98:99] op_sel:[0,1]
	v_pk_mov_b32 v[120:121], v[96:97], v[96:97] op_sel:[0,1]
	v_pk_mov_b32 v[118:119], v[94:95], v[94:95] op_sel:[0,1]
	v_pk_mov_b32 v[116:117], v[92:93], v[92:93] op_sel:[0,1]
	v_pk_mov_b32 v[114:115], v[90:91], v[90:91] op_sel:[0,1]
	v_pk_mov_b32 v[112:113], v[88:89], v[88:89] op_sel:[0,1]
	v_pk_mov_b32 v[110:111], v[86:87], v[86:87] op_sel:[0,1]
	v_pk_mov_b32 v[108:109], v[84:85], v[84:85] op_sel:[0,1]
	v_pk_mov_b32 v[8:9], v[86:87], v[86:87] op_sel:[0,1]
	v_accvgpr_read_b32 v86, a162
	v_mov_b32_e32 v185, v175
	v_accvgpr_mov_b32 a65, a167
	v_accvgpr_mov_b32 a66, a168
	;; [unrolled: 1-line block ×47, first 2 shown]
	v_accvgpr_read_b32 v141, a195
	v_accvgpr_read_b32 v142, a196
	;; [unrolled: 1-line block ×7, first 2 shown]
	v_pk_mov_b32 v[172:173], v[2:3], v[2:3] op_sel:[0,1]
	v_pk_mov_b32 v[2:3], v[174:175], v[174:175] op_sel:[0,1]
	v_accvgpr_read_b32 v87, a163
	v_accvgpr_mov_b32 a80, a182
	v_accvgpr_mov_b32 a81, a183
	;; [unrolled: 1-line block ×75, first 2 shown]
	v_accvgpr_read_b32 v148, a202
	v_accvgpr_read_b32 v149, a203
	;; [unrolled: 1-line block ×24, first 2 shown]
.LBB18_32:
	s_or_b64 exec, exec, s[4:5]
	v_accvgpr_read_b32 v20, a200
	v_cmp_lt_f64_e32 vcc, v[4:5], v[76:77]
	v_pk_mov_b32 v[174:175], v[4:5], v[4:5] op_sel:[0,1]
	v_accvgpr_read_b32 v21, a201
	s_and_saveexec_b64 s[4:5], vcc
	s_cbranch_execz .LBB18_34
; %bb.33:
	v_accvgpr_mov_b32 a111, a193
	v_accvgpr_write_b32 a100, v108
	v_accvgpr_write_b32 a101, v109
	;; [unrolled: 1-line block ×6, first 2 shown]
	v_accvgpr_mov_b32 a106, a122
	v_accvgpr_mov_b32 a107, a123
	;; [unrolled: 1-line block ×5, first 2 shown]
	v_accvgpr_write_b32 a80, v108
	v_accvgpr_write_b32 a81, v109
	;; [unrolled: 1-line block ×6, first 2 shown]
	v_accvgpr_mov_b32 a86, a122
	v_accvgpr_mov_b32 a87, a123
	;; [unrolled: 1-line block ×11, first 2 shown]
	v_accvgpr_write_b32 a182, v108
	v_accvgpr_write_b32 a166, v108
	;; [unrolled: 1-line block ×3, first 2 shown]
	v_accvgpr_mov_b32 a131, a83
	v_accvgpr_mov_b32 a130, a82
	;; [unrolled: 1-line block ×5, first 2 shown]
	v_accvgpr_read_b32 v20, a122
	s_waitcnt vmcnt(57)
	v_accvgpr_read_b32 v114, a122
	s_waitcnt vmcnt(56)
	v_accvgpr_read_b32 v115, a123
	v_accvgpr_write_b32 a224, v108
	v_accvgpr_write_b32 a225, v109
	;; [unrolled: 1-line block ×6, first 2 shown]
	v_accvgpr_mov_b32 a230, a122
	v_accvgpr_mov_b32 a231, a123
	;; [unrolled: 1-line block ×4, first 2 shown]
	v_accvgpr_write_b32 a183, v109
	v_accvgpr_write_b32 a184, v110
	;; [unrolled: 1-line block ×5, first 2 shown]
	v_accvgpr_mov_b32 a188, a122
	v_accvgpr_mov_b32 a189, a123
	;; [unrolled: 1-line block ×4, first 2 shown]
	v_accvgpr_write_b32 a167, v109
	v_accvgpr_write_b32 a168, v110
	;; [unrolled: 1-line block ×5, first 2 shown]
	v_accvgpr_mov_b32 a172, a122
	v_accvgpr_mov_b32 a173, a123
	;; [unrolled: 1-line block ×8, first 2 shown]
	v_accvgpr_write_b32 a203, v109
	v_accvgpr_write_b32 a204, v110
	;; [unrolled: 1-line block ×5, first 2 shown]
	v_accvgpr_mov_b32 a208, a122
	v_accvgpr_mov_b32 a209, a123
	;; [unrolled: 1-line block ×12, first 2 shown]
	v_accvgpr_write_b32 a222, v74
	v_accvgpr_write_b32 a223, v75
	v_accvgpr_read_b32 v22, a202
	v_accvgpr_mov_b32 a158, a110
	v_accvgpr_mov_b32 a157, a109
	;; [unrolled: 1-line block ×60, first 2 shown]
	s_waitcnt vmcnt(32)
	v_pk_mov_b32 v[170:171], v[138:139], v[138:139] op_sel:[0,1]
	v_accvgpr_read_b32 v21, a123
	v_accvgpr_mov_b32 a122, a200
	v_mov_b32_e32 v188, v4
	v_mov_b32_e32 v189, v5
	;; [unrolled: 1-line block ×4, first 2 shown]
	v_accvgpr_read_b32 v23, a203
	v_accvgpr_read_b32 v24, a204
	;; [unrolled: 1-line block ×21, first 2 shown]
	v_accvgpr_mov_b32 a65, a167
	v_accvgpr_mov_b32 a66, a168
	;; [unrolled: 1-line block ×26, first 2 shown]
	v_pk_mov_b32 v[146:147], v[114:115], v[114:115] op_sel:[0,1]
	v_pk_mov_b32 v[144:145], v[112:113], v[112:113] op_sel:[0,1]
	;; [unrolled: 1-line block ×6, first 2 shown]
	v_accvgpr_mov_b32 a123, a201
	v_accvgpr_read_b32 v44, a224
	v_accvgpr_read_b32 v45, a225
	;; [unrolled: 1-line block ×10, first 2 shown]
	v_accvgpr_mov_b32 a80, a182
	v_accvgpr_mov_b32 a81, a183
	;; [unrolled: 1-line block ×36, first 2 shown]
	v_pk_mov_b32 v[168:169], v[136:137], v[136:137] op_sel:[0,1]
	v_pk_mov_b32 v[166:167], v[134:135], v[134:135] op_sel:[0,1]
	;; [unrolled: 1-line block ×11, first 2 shown]
.LBB18_34:
	s_or_b64 exec, exec, s[4:5]
	v_accvgpr_mov_b32 a170, a192
	v_cmp_lt_f64_e32 vcc, v[176:177], v[78:79]
	v_pk_mov_b32 v[84:85], v[176:177], v[176:177] op_sel:[0,1]
	v_accvgpr_mov_b32 a171, a193
	s_and_saveexec_b64 s[4:5], vcc
	s_cbranch_execz .LBB18_36
; %bb.35:
	v_accvgpr_mov_b32 a166, a224
	v_accvgpr_mov_b32 a80, a224
	;; [unrolled: 1-line block ×117, first 2 shown]
	v_accvgpr_write_b32 a222, v74
	v_accvgpr_write_b32 a223, v75
	v_accvgpr_read_b32 v22, a202
	v_accvgpr_mov_b32 a0, a224
	v_accvgpr_mov_b32 a170, a112
	;; [unrolled: 1-line block ×3, first 2 shown]
	v_mov_b32_e32 v192, v176
	v_mov_b32_e32 v193, v177
	;; [unrolled: 1-line block ×4, first 2 shown]
	v_accvgpr_mov_b32 a32, a224
	v_accvgpr_mov_b32 a33, a225
	;; [unrolled: 1-line block ×12, first 2 shown]
	v_accvgpr_read_b32 v23, a203
	v_accvgpr_read_b32 v24, a204
	;; [unrolled: 1-line block ×21, first 2 shown]
	v_accvgpr_mov_b32 a1, a225
	v_accvgpr_mov_b32 a2, a226
	;; [unrolled: 1-line block ×11, first 2 shown]
	v_pk_mov_b32 v[84:85], v[78:79], v[78:79] op_sel:[0,1]
	v_pk_mov_b32 v[78:79], v[176:177], v[176:177] op_sel:[0,1]
	v_accvgpr_mov_b32 a113, a193
	v_accvgpr_read_b32 v44, a224
	v_accvgpr_read_b32 v45, a225
	;; [unrolled: 1-line block ×10, first 2 shown]
	v_accvgpr_mov_b32 a12, a236
	v_accvgpr_mov_b32 a13, a237
	;; [unrolled: 1-line block ×20, first 2 shown]
.LBB18_36:
	s_or_b64 exec, exec, s[4:5]
	v_accvgpr_read_b32 v237, a181
	v_cmp_lt_f64_e32 vcc, v[178:179], v[80:81]
	v_pk_mov_b32 v[176:177], v[178:179], v[178:179] op_sel:[0,1]
	v_accvgpr_read_b32 v236, a180
	s_and_saveexec_b64 s[4:5], vcc
	s_cbranch_execz .LBB18_38
; %bb.37:
	v_accvgpr_mov_b32 a202, a32
	v_accvgpr_read_b32 v237, a97
	v_accvgpr_mov_b32 a46, a96
	v_accvgpr_mov_b32 a47, a97
	;; [unrolled: 1-line block ×21, first 2 shown]
	v_accvgpr_write_b32 a222, v74
	v_accvgpr_write_b32 a223, v75
	v_accvgpr_read_b32 v22, a202
	v_accvgpr_mov_b32 a95, a63
	v_accvgpr_read_b32 v236, a96
	v_accvgpr_mov_b32 a96, a180
	v_mov_b32_e32 v196, v178
	v_mov_b32_e32 v197, v179
	;; [unrolled: 1-line block ×4, first 2 shown]
	v_accvgpr_mov_b32 a128, a32
	v_accvgpr_mov_b32 a129, a33
	v_accvgpr_mov_b32 a130, a34
	v_accvgpr_mov_b32 a131, a35
	v_accvgpr_mov_b32 a132, a36
	v_accvgpr_mov_b32 a133, a37
	v_accvgpr_mov_b32 a134, a38
	v_accvgpr_mov_b32 a135, a39
	v_accvgpr_mov_b32 a136, a40
	v_accvgpr_mov_b32 a137, a41
	v_accvgpr_mov_b32 a138, a42
	v_accvgpr_mov_b32 a139, a43
	v_accvgpr_mov_b32 a140, a44
	v_accvgpr_mov_b32 a141, a45
	v_accvgpr_mov_b32 a144, a180
	v_accvgpr_mov_b32 a145, a181
	v_accvgpr_read_b32 v23, a203
	v_accvgpr_read_b32 v24, a204
	;; [unrolled: 1-line block ×21, first 2 shown]
	v_accvgpr_mov_b32 a79, a47
	v_accvgpr_mov_b32 a78, a46
	;; [unrolled: 1-line block ×16, first 2 shown]
	v_pk_mov_b32 v[176:177], v[80:81], v[80:81] op_sel:[0,1]
	v_pk_mov_b32 v[80:81], v[178:179], v[178:179] op_sel:[0,1]
	v_accvgpr_mov_b32 a97, a181
	v_accvgpr_read_b32 v44, a224
	v_accvgpr_read_b32 v45, a225
	;; [unrolled: 1-line block ×10, first 2 shown]
	v_accvgpr_mov_b32 a94, a62
	v_accvgpr_mov_b32 a93, a61
	;; [unrolled: 1-line block ×15, first 2 shown]
.LBB18_38:
	s_or_b64 exec, exec, s[4:5]
	v_accvgpr_read_b32 v72, a220
	v_cmp_lt_f64_e32 vcc, v[180:181], v[82:83]
	v_pk_mov_b32 v[0:1], v[180:181], v[180:181] op_sel:[0,1]
	v_accvgpr_read_b32 v73, a221
	s_and_saveexec_b64 s[4:5], vcc
	s_cbranch_execz .LBB18_40
; %bb.39:
	v_accvgpr_write_b32 a146, v74
	v_accvgpr_write_b32 a147, v75
	v_accvgpr_mov_b32 a148, a220
	v_accvgpr_mov_b32 a149, a221
	v_accvgpr_read_b32 v22, a128
	v_pk_mov_b32 v[72:73], v[74:75], v[74:75] op_sel:[0,1]
	v_accvgpr_read_b32 v74, a220
	v_mov_b32_e32 v200, v180
	v_mov_b32_e32 v201, v181
	;; [unrolled: 1-line block ×4, first 2 shown]
	v_accvgpr_read_b32 v23, a129
	v_accvgpr_read_b32 v24, a130
	;; [unrolled: 1-line block ×21, first 2 shown]
	v_pk_mov_b32 v[0:1], v[82:83], v[82:83] op_sel:[0,1]
	v_pk_mov_b32 v[82:83], v[180:181], v[180:181] op_sel:[0,1]
	v_accvgpr_read_b32 v75, a221
	v_accvgpr_read_b32 v44, a150
	v_accvgpr_read_b32 v45, a151
	v_accvgpr_read_b32 v46, a152
	v_accvgpr_read_b32 v47, a153
	v_accvgpr_read_b32 v48, a154
	v_accvgpr_read_b32 v49, a155
	v_accvgpr_read_b32 v50, a156
	v_accvgpr_read_b32 v51, a157
	v_accvgpr_read_b32 v52, a158
	v_accvgpr_read_b32 v53, a159
.LBB18_40:
	s_or_b64 exec, exec, s[4:5]
	v_cmp_lt_f64_e32 vcc, v[2:3], v[90:91]
	v_pk_mov_b32 v[88:89], v[90:91], v[90:91] op_sel:[0,1]
	v_pk_mov_b32 v[6:7], v[10:11], v[10:11] op_sel:[0,1]
	s_and_saveexec_b64 s[4:5], vcc
	s_cbranch_execz .LBB18_42
; %bb.41:
	v_mov_b32_e32 v54, v8
	v_mov_b32_e32 v55, v9
	;; [unrolled: 1-line block ×10, first 2 shown]
	v_accvgpr_read_b32 v62, a122
	v_accvgpr_read_b32 v63, a123
	;; [unrolled: 1-line block ×6, first 2 shown]
	v_mov_b32_e32 v68, v236
	v_mov_b32_e32 v69, v237
	v_accvgpr_read_b32 v70, a96
	v_accvgpr_read_b32 v71, a97
	v_pk_mov_b32 v[22:23], v[54:55], v[54:55] op_sel:[0,1]
	v_mov_b32_e32 v100, v194
	v_mov_b32_e32 v101, v195
	;; [unrolled: 1-line block ×8, first 2 shown]
	v_pk_mov_b32 v[198:199], v[108:109], v[108:109] op_sel:[0,1]
	v_pk_mov_b32 v[38:39], v[70:71], v[70:71] op_sel:[0,1]
	;; [unrolled: 1-line block ×3, first 2 shown]
	v_mov_b32_e32 v12, v86
	v_mov_b32_e32 v13, v87
	;; [unrolled: 1-line block ×8, first 2 shown]
	v_pk_mov_b32 v[196:197], v[106:107], v[106:107] op_sel:[0,1]
	v_pk_mov_b32 v[194:195], v[104:105], v[104:105] op_sel:[0,1]
	v_pk_mov_b32 v[24:25], v[56:57], v[56:57] op_sel:[0,1]
	v_pk_mov_b32 v[26:27], v[58:59], v[58:59] op_sel:[0,1]
	v_pk_mov_b32 v[28:29], v[60:61], v[60:61] op_sel:[0,1]
	v_pk_mov_b32 v[30:31], v[62:63], v[62:63] op_sel:[0,1]
	v_pk_mov_b32 v[32:33], v[64:65], v[64:65] op_sel:[0,1]
	v_pk_mov_b32 v[34:35], v[66:67], v[66:67] op_sel:[0,1]
	v_pk_mov_b32 v[36:37], v[68:69], v[68:69] op_sel:[0,1]
	v_pk_mov_b32 v[40:41], v[72:73], v[72:73] op_sel:[0,1]
	v_pk_mov_b32 v[42:43], v[74:75], v[74:75] op_sel:[0,1]
	v_pk_mov_b32 v[170:171], v[44:45], v[44:45] op_sel:[0,1]
	s_waitcnt vmcnt(32)
	v_pk_mov_b32 v[138:139], v[38:39], v[38:39] op_sel:[0,1]
	v_accvgpr_write_b32 a114, v8
	v_accvgpr_write_b32 a115, v9
	;; [unrolled: 1-line block ×18, first 2 shown]
	v_mov_b32_e32 v222, v8
	v_mov_b32_e32 v223, v9
	;; [unrolled: 1-line block ×6, first 2 shown]
	v_accvgpr_write_b32 a80, v8
	v_accvgpr_write_b32 a81, v9
	;; [unrolled: 1-line block ×6, first 2 shown]
	v_pk_mov_b32 v[168:169], v[42:43], v[42:43] op_sel:[0,1]
	v_pk_mov_b32 v[166:167], v[40:41], v[40:41] op_sel:[0,1]
	;; [unrolled: 1-line block ×30, first 2 shown]
	buffer_store_dword v8, off, s[8:11], 0 offset:128 ; 4-byte Folded Spill
	s_nop 0
	buffer_store_dword v9, off, s[8:11], 0 offset:132 ; 4-byte Folded Spill
	buffer_store_dword v10, off, s[8:11], 0 offset:136 ; 4-byte Folded Spill
	;; [unrolled: 1-line block ×31, first 2 shown]
	buffer_store_dword v8, off, s[8:11], 0  ; 4-byte Folded Spill
	s_nop 0
	buffer_store_dword v9, off, s[8:11], 0 offset:4 ; 4-byte Folded Spill
	buffer_store_dword v10, off, s[8:11], 0 offset:8 ; 4-byte Folded Spill
	buffer_store_dword v11, off, s[8:11], 0 offset:12 ; 4-byte Folded Spill
	buffer_store_dword v12, off, s[8:11], 0 offset:16 ; 4-byte Folded Spill
	buffer_store_dword v13, off, s[8:11], 0 offset:20 ; 4-byte Folded Spill
	buffer_store_dword v14, off, s[8:11], 0 offset:24 ; 4-byte Folded Spill
	buffer_store_dword v15, off, s[8:11], 0 offset:28 ; 4-byte Folded Spill
	buffer_store_dword v16, off, s[8:11], 0 offset:32 ; 4-byte Folded Spill
	buffer_store_dword v17, off, s[8:11], 0 offset:36 ; 4-byte Folded Spill
	buffer_store_dword v18, off, s[8:11], 0 offset:40 ; 4-byte Folded Spill
	buffer_store_dword v19, off, s[8:11], 0 offset:44 ; 4-byte Folded Spill
	buffer_store_dword v20, off, s[8:11], 0 offset:48 ; 4-byte Folded Spill
	buffer_store_dword v21, off, s[8:11], 0 offset:52 ; 4-byte Folded Spill
	buffer_store_dword v22, off, s[8:11], 0 offset:56 ; 4-byte Folded Spill
	buffer_store_dword v23, off, s[8:11], 0 offset:60 ; 4-byte Folded Spill
	buffer_store_dword v24, off, s[8:11], 0 offset:64 ; 4-byte Folded Spill
	buffer_store_dword v25, off, s[8:11], 0 offset:68 ; 4-byte Folded Spill
	buffer_store_dword v26, off, s[8:11], 0 offset:72 ; 4-byte Folded Spill
	buffer_store_dword v27, off, s[8:11], 0 offset:76 ; 4-byte Folded Spill
	buffer_store_dword v28, off, s[8:11], 0 offset:80 ; 4-byte Folded Spill
	buffer_store_dword v29, off, s[8:11], 0 offset:84 ; 4-byte Folded Spill
	buffer_store_dword v30, off, s[8:11], 0 offset:88 ; 4-byte Folded Spill
	buffer_store_dword v31, off, s[8:11], 0 offset:92 ; 4-byte Folded Spill
	buffer_store_dword v32, off, s[8:11], 0 offset:96 ; 4-byte Folded Spill
	buffer_store_dword v33, off, s[8:11], 0 offset:100 ; 4-byte Folded Spill
	buffer_store_dword v34, off, s[8:11], 0 offset:104 ; 4-byte Folded Spill
	buffer_store_dword v35, off, s[8:11], 0 offset:108 ; 4-byte Folded Spill
	buffer_store_dword v36, off, s[8:11], 0 offset:112 ; 4-byte Folded Spill
	buffer_store_dword v37, off, s[8:11], 0 offset:116 ; 4-byte Folded Spill
	buffer_store_dword v38, off, s[8:11], 0 offset:120 ; 4-byte Folded Spill
	buffer_store_dword v39, off, s[8:11], 0 offset:124 ; 4-byte Folded Spill
	v_accvgpr_mov_b32 a111, a171
	v_mov_b32_e32 v88, v2
	v_mov_b32_e32 v89, v3
	;; [unrolled: 1-line block ×10, first 2 shown]
	v_accvgpr_write_b32 a104, v86
	v_accvgpr_write_b32 a105, v87
	v_accvgpr_mov_b32 a108, a122
	v_accvgpr_mov_b32 a109, a123
	;; [unrolled: 1-line block ×3, first 2 shown]
	v_pk_mov_b32 v[192:193], v[102:103], v[102:103] op_sel:[0,1]
	v_accvgpr_write_b32 a84, v86
	v_accvgpr_write_b32 a85, v87
	v_accvgpr_mov_b32 a88, a122
	v_accvgpr_mov_b32 a89, a123
	;; [unrolled: 1-line block ×6, first 2 shown]
	v_accvgpr_write_b32 a94, v236
	v_accvgpr_write_b32 a95, v237
	v_accvgpr_mov_b32 a159, a111
	v_pk_mov_b32 v[190:191], v[100:101], v[100:101] op_sel:[0,1]
	v_pk_mov_b32 v[188:189], v[98:99], v[98:99] op_sel:[0,1]
	v_pk_mov_b32 v[186:187], v[96:97], v[96:97] op_sel:[0,1]
	v_pk_mov_b32 v[184:185], v[94:95], v[94:95] op_sel:[0,1]
	v_pk_mov_b32 v[182:183], v[92:93], v[92:93] op_sel:[0,1]
	v_accvgpr_mov_b32 a145, a97
	v_accvgpr_write_b32 a118, v86
	v_accvgpr_write_b32 a119, v87
	;; [unrolled: 1-line block ×4, first 2 shown]
	v_accvgpr_mov_b32 a168, a122
	v_accvgpr_mov_b32 a169, a123
	v_pk_mov_b32 v[180:181], v[90:91], v[90:91] op_sel:[0,1]
	v_pk_mov_b32 v[178:179], v[88:89], v[88:89] op_sel:[0,1]
	v_mov_b32_e32 v226, v86
	v_mov_b32_e32 v227, v87
	v_accvgpr_read_b32 v230, a122
	v_accvgpr_read_b32 v231, a123
	;; [unrolled: 1-line block ×6, first 2 shown]
	v_accvgpr_mov_b32 a158, a110
	v_accvgpr_mov_b32 a157, a109
	;; [unrolled: 1-line block ×30, first 2 shown]
	v_accvgpr_write_b32 a64, v222
	v_accvgpr_mov_b32 a32, a100
	v_accvgpr_mov_b32 a0, a160
	;; [unrolled: 1-line block ×3, first 2 shown]
	v_pk_mov_b32 v[212:213], v[208:209], v[208:209] op_sel:[0,1]
	v_accvgpr_write_b32 a65, v223
	v_accvgpr_write_b32 a66, v224
	v_accvgpr_write_b32 a67, v225
	v_accvgpr_write_b32 a68, v226
	v_accvgpr_write_b32 a69, v227
	v_accvgpr_write_b32 a70, v228
	v_accvgpr_write_b32 a71, v229
	v_accvgpr_write_b32 a72, v230
	v_accvgpr_write_b32 a73, v231
	v_accvgpr_write_b32 a74, v232
	v_accvgpr_write_b32 a75, v233
	v_accvgpr_write_b32 a76, v234
	v_accvgpr_write_b32 a77, v235
	v_accvgpr_write_b32 a78, v236
	v_accvgpr_write_b32 a79, v237
	v_accvgpr_mov_b32 a33, a101
	v_accvgpr_mov_b32 a34, a102
	;; [unrolled: 1-line block ×34, first 2 shown]
	v_pk_mov_b32 v[210:211], v[206:207], v[206:207] op_sel:[0,1]
	v_pk_mov_b32 v[208:209], v[204:205], v[204:205] op_sel:[0,1]
	;; [unrolled: 1-line block ×23, first 2 shown]
	v_accvgpr_write_b32 a80, v238
	v_accvgpr_write_b32 a81, v239
	;; [unrolled: 1-line block ×16, first 2 shown]
	v_accvgpr_mov_b32 a46, a114
	v_accvgpr_mov_b32 a47, a115
	;; [unrolled: 1-line block ×59, first 2 shown]
.LBB18_42:
	s_or_b64 exec, exec, s[4:5]
	v_accvgpr_write_b32 a99, v87
	v_cmp_lt_f64_e32 vcc, v[76:77], v[172:173]
	v_pk_mov_b32 v[178:179], v[76:77], v[76:77] op_sel:[0,1]
	v_accvgpr_write_b32 a98, v86
	s_and_saveexec_b64 s[4:5], vcc
	s_cbranch_execz .LBB18_44
; %bb.43:
	buffer_load_dword v108, off, s[8:11], 0 offset:128 ; 4-byte Folded Reload
	buffer_load_dword v109, off, s[8:11], 0 offset:132 ; 4-byte Folded Reload
	;; [unrolled: 1-line block ×32, first 2 shown]
	v_mov_b32_e32 v58, v20
	v_mov_b32_e32 v59, v21
	;; [unrolled: 1-line block ×4, first 2 shown]
	v_accvgpr_read_b32 v62, a122
	v_accvgpr_read_b32 v63, a123
	;; [unrolled: 1-line block ×6, first 2 shown]
	v_mov_b32_e32 v68, v236
	v_mov_b32_e32 v69, v237
	v_accvgpr_read_b32 v70, a96
	v_accvgpr_read_b32 v71, a97
	s_waitcnt vmcnt(27)
	v_mov_b32_e32 v112, v20
	s_waitcnt vmcnt(26)
	v_mov_b32_e32 v113, v21
	v_mov_b32_e32 v144, v20
	;; [unrolled: 1-line block ×3, first 2 shown]
	v_accvgpr_write_b32 a118, v20
	v_accvgpr_write_b32 a119, v21
	;; [unrolled: 1-line block ×6, first 2 shown]
	v_mov_b32_e32 v226, v20
	v_mov_b32_e32 v227, v21
	v_accvgpr_write_b32 a84, v20
	v_accvgpr_write_b32 a85, v21
	v_accvgpr_mov_b32 a111, a171
	v_accvgpr_write_b32 a106, v86
	v_accvgpr_write_b32 a107, v87
	v_accvgpr_mov_b32 a108, a122
	v_accvgpr_mov_b32 a109, a123
	;; [unrolled: 1-line block ×3, first 2 shown]
	v_accvgpr_write_b32 a86, v86
	v_accvgpr_write_b32 a87, v87
	v_accvgpr_mov_b32 a88, a122
	v_accvgpr_mov_b32 a89, a123
	;; [unrolled: 1-line block ×6, first 2 shown]
	v_accvgpr_write_b32 a94, v236
	v_accvgpr_write_b32 a95, v237
	;; [unrolled: 1-line block ×6, first 2 shown]
	v_accvgpr_mov_b32 a168, a122
	v_accvgpr_mov_b32 a169, a123
	v_mov_b32_e32 v228, v86
	v_mov_b32_e32 v229, v87
	v_accvgpr_read_b32 v230, a122
	v_accvgpr_read_b32 v231, a123
	;; [unrolled: 1-line block ×6, first 2 shown]
	v_mov_b32_e32 v186, v76
	v_mov_b32_e32 v187, v77
	;; [unrolled: 1-line block ×6, first 2 shown]
	v_pk_mov_b32 v[178:179], v[172:173], v[172:173] op_sel:[0,1]
	v_pk_mov_b32 v[172:173], v[76:77], v[76:77] op_sel:[0,1]
	v_mov_b32_e32 v54, v108
	v_mov_b32_e32 v55, v109
	;; [unrolled: 1-line block ×4, first 2 shown]
	v_pk_mov_b32 v[22:23], v[54:55], v[54:55] op_sel:[0,1]
	v_pk_mov_b32 v[10:11], v[108:109], v[108:109] op_sel:[0,1]
	;; [unrolled: 1-line block ×12, first 2 shown]
	buffer_store_dword v10, off, s[8:11], 0 offset:128 ; 4-byte Folded Spill
	s_nop 0
	buffer_store_dword v11, off, s[8:11], 0 offset:132 ; 4-byte Folded Spill
	buffer_store_dword v12, off, s[8:11], 0 offset:136 ; 4-byte Folded Spill
	;; [unrolled: 1-line block ×31, first 2 shown]
	v_accvgpr_write_b32 a100, v108
	v_accvgpr_write_b32 a101, v109
	;; [unrolled: 1-line block ×8, first 2 shown]
	v_accvgpr_mov_b32 a159, a111
	v_accvgpr_write_b32 a160, v108
	v_mov_b32_e32 v222, v108
	v_accvgpr_mov_b32 a145, a97
	v_accvgpr_write_b32 a114, v108
	v_accvgpr_write_b32 a115, v109
	;; [unrolled: 1-line block ×7, first 2 shown]
	v_mov_b32_e32 v223, v109
	v_mov_b32_e32 v224, v110
	;; [unrolled: 1-line block ×3, first 2 shown]
	v_accvgpr_mov_b32 a158, a110
	v_accvgpr_mov_b32 a157, a109
	;; [unrolled: 1-line block ×30, first 2 shown]
	v_accvgpr_write_b32 a64, v222
	v_accvgpr_mov_b32 a32, a100
	v_accvgpr_mov_b32 a0, a160
	;; [unrolled: 1-line block ×3, first 2 shown]
	v_accvgpr_write_b32 a99, v21
	v_mov_b32_e32 v140, v108
	v_mov_b32_e32 v141, v109
	v_mov_b32_e32 v142, v110
	v_mov_b32_e32 v143, v111
	v_pk_mov_b32 v[42:43], v[74:75], v[74:75] op_sel:[0,1]
	v_accvgpr_write_b32 a65, v223
	v_accvgpr_write_b32 a66, v224
	;; [unrolled: 1-line block ×15, first 2 shown]
	v_accvgpr_mov_b32 a33, a101
	v_accvgpr_mov_b32 a34, a102
	;; [unrolled: 1-line block ×34, first 2 shown]
	v_accvgpr_write_b32 a98, v20
	v_pk_mov_b32 v[20:21], v[86:87], v[86:87] op_sel:[0,1]
	v_pk_mov_b32 v[44:45], v[76:77], v[76:77] op_sel:[0,1]
	v_pk_mov_b32 v[46:47], v[78:79], v[78:79] op_sel:[0,1]
	v_pk_mov_b32 v[48:49], v[80:81], v[80:81] op_sel:[0,1]
	v_pk_mov_b32 v[50:51], v[82:83], v[82:83] op_sel:[0,1]
	v_pk_mov_b32 v[52:53], v[84:85], v[84:85] op_sel:[0,1]
	v_accvgpr_write_b32 a80, v238
	v_accvgpr_write_b32 a81, v239
	;; [unrolled: 1-line block ×16, first 2 shown]
	v_accvgpr_mov_b32 a46, a114
	v_accvgpr_mov_b32 a47, a115
	;; [unrolled: 1-line block ×59, first 2 shown]
.LBB18_44:
	s_or_b64 exec, exec, s[4:5]
	v_accvgpr_read_b32 v106, a122
	v_cmp_lt_f64_e32 vcc, v[78:79], v[174:175]
	v_pk_mov_b32 v[180:181], v[78:79], v[78:79] op_sel:[0,1]
	v_accvgpr_read_b32 v107, a123
	s_and_saveexec_b64 s[4:5], vcc
	s_cbranch_execz .LBB18_46
; %bb.45:
	v_accvgpr_mov_b32 a111, a123
	v_accvgpr_write_b32 a100, v140
	v_accvgpr_write_b32 a101, v141
	;; [unrolled: 1-line block ×8, first 2 shown]
	v_accvgpr_mov_b32 a108, a170
	v_accvgpr_mov_b32 a109, a171
	;; [unrolled: 1-line block ×3, first 2 shown]
	v_mov_b32_e32 v222, v140
	v_accvgpr_write_b32 a80, v140
	v_accvgpr_write_b32 a81, v141
	v_accvgpr_write_b32 a82, v142
	v_accvgpr_write_b32 a83, v143
	v_accvgpr_write_b32 a84, v144
	v_accvgpr_write_b32 a85, v145
	v_accvgpr_write_b32 a86, v146
	v_accvgpr_write_b32 a87, v147
	v_accvgpr_mov_b32 a88, a170
	v_accvgpr_mov_b32 a89, a171
	v_accvgpr_mov_b32 a90, a122
	v_accvgpr_mov_b32 a91, a123
	v_accvgpr_mov_b32 a92, a112
	v_accvgpr_mov_b32 a93, a113
	v_accvgpr_write_b32 a94, v236
	v_accvgpr_write_b32 a95, v237
	v_mov_b32_e32 v54, v140
	v_mov_b32_e32 v55, v141
	v_accvgpr_mov_b32 a159, a111
	v_accvgpr_read_b32 v106, a170
	v_accvgpr_read_b32 v148, a170
	;; [unrolled: 1-line block ×3, first 2 shown]
	v_accvgpr_mov_b32 a8, a170
	v_accvgpr_mov_b32 a9, a171
	v_mov_b32_e32 v223, v141
	v_mov_b32_e32 v224, v142
	;; [unrolled: 1-line block ×7, first 2 shown]
	v_accvgpr_read_b32 v230, a170
	v_accvgpr_read_b32 v231, a171
	;; [unrolled: 1-line block ×6, first 2 shown]
	v_mov_b32_e32 v56, v142
	v_mov_b32_e32 v57, v143
	;; [unrolled: 1-line block ×6, first 2 shown]
	v_accvgpr_read_b32 v62, a170
	v_accvgpr_read_b32 v63, a171
	;; [unrolled: 1-line block ×6, first 2 shown]
	v_mov_b32_e32 v68, v236
	v_mov_b32_e32 v69, v237
	v_accvgpr_read_b32 v70, a96
	v_accvgpr_read_b32 v71, a97
	v_pk_mov_b32 v[22:23], v[54:55], v[54:55] op_sel:[0,1]
	v_accvgpr_mov_b32 a158, a110
	v_accvgpr_mov_b32 a157, a109
	;; [unrolled: 1-line block ×31, first 2 shown]
	v_accvgpr_write_b32 a64, v222
	v_accvgpr_mov_b32 a32, a100
	v_accvgpr_write_b32 a255, v171
	v_accvgpr_read_b32 v107, a171
	v_accvgpr_mov_b32 a171, a123
	v_mov_b32_e32 v190, v78
	v_mov_b32_e32 v191, v79
	;; [unrolled: 1-line block ×4, first 2 shown]
	v_accvgpr_write_b32 a0, v140
	v_accvgpr_write_b32 a1, v141
	;; [unrolled: 1-line block ×8, first 2 shown]
	v_accvgpr_mov_b32 a10, a122
	v_accvgpr_mov_b32 a11, a123
	v_pk_mov_b32 v[24:25], v[56:57], v[56:57] op_sel:[0,1]
	v_pk_mov_b32 v[26:27], v[58:59], v[58:59] op_sel:[0,1]
	;; [unrolled: 1-line block ×10, first 2 shown]
	v_accvgpr_write_b32 a65, v223
	v_accvgpr_write_b32 a66, v224
	;; [unrolled: 1-line block ×15, first 2 shown]
	v_accvgpr_mov_b32 a33, a101
	v_accvgpr_mov_b32 a34, a102
	;; [unrolled: 1-line block ×13, first 2 shown]
	v_accvgpr_write_b32 a233, v149
	v_accvgpr_write_b32 a232, v148
	;; [unrolled: 1-line block ×10, first 2 shown]
	v_pk_mov_b32 v[180:181], v[174:175], v[174:175] op_sel:[0,1]
	v_pk_mov_b32 v[174:175], v[78:79], v[78:79] op_sel:[0,1]
	v_accvgpr_mov_b32 a170, a122
	v_pk_mov_b32 v[44:45], v[76:77], v[76:77] op_sel:[0,1]
	v_pk_mov_b32 v[46:47], v[78:79], v[78:79] op_sel:[0,1]
	;; [unrolled: 1-line block ×5, first 2 shown]
	v_accvgpr_write_b32 a80, v238
	v_accvgpr_write_b32 a81, v239
	;; [unrolled: 1-line block ×16, first 2 shown]
	v_accvgpr_mov_b32 a46, a114
	v_accvgpr_mov_b32 a47, a115
	;; [unrolled: 1-line block ×18, first 2 shown]
	v_accvgpr_write_b32 a254, v170
	v_accvgpr_write_b32 a253, v169
	;; [unrolled: 1-line block ×21, first 2 shown]
.LBB18_46:
	s_or_b64 exec, exec, s[4:5]
	v_accvgpr_mov_b32 a215, a113
	v_cmp_lt_f64_e32 vcc, v[80:81], v[84:85]
	v_pk_mov_b32 v[240:241], v[80:81], v[80:81] op_sel:[0,1]
	v_accvgpr_mov_b32 a214, a112
	s_and_saveexec_b64 s[4:5], vcc
	s_cbranch_execz .LBB18_48
; %bb.47:
	v_accvgpr_read_b32 v54, a0
	v_accvgpr_read_b32 v55, a1
	v_accvgpr_write_b32 a214, v236
	v_accvgpr_write_b32 a12, v236
	;; [unrolled: 1-line block ×5, first 2 shown]
	v_accvgpr_mov_b32 a80, a0
	v_accvgpr_mov_b32 a81, a1
	;; [unrolled: 1-line block ×12, first 2 shown]
	v_accvgpr_write_b32 a92, v236
	v_accvgpr_write_b32 a93, v237
	v_accvgpr_mov_b32 a94, a112
	v_accvgpr_mov_b32 a95, a113
	v_accvgpr_read_b32 v56, a2
	v_accvgpr_read_b32 v57, a3
	;; [unrolled: 1-line block ×10, first 2 shown]
	v_mov_b32_e32 v66, v236
	v_mov_b32_e32 v67, v237
	v_accvgpr_read_b32 v68, a112
	v_accvgpr_read_b32 v69, a113
	;; [unrolled: 1-line block ×4, first 2 shown]
	v_pk_mov_b32 v[22:23], v[54:55], v[54:55] op_sel:[0,1]
	v_accvgpr_mov_b32 a159, a111
	v_accvgpr_mov_b32 a63, a31
	v_accvgpr_write_b32 a215, v237
	v_accvgpr_read_b32 v237, a113
	v_mov_b32_e32 v194, v80
	v_mov_b32_e32 v195, v81
	;; [unrolled: 1-line block ×4, first 2 shown]
	v_accvgpr_mov_b32 a64, a0
	v_accvgpr_mov_b32 a65, a1
	;; [unrolled: 1-line block ×14, first 2 shown]
	v_pk_mov_b32 v[24:25], v[56:57], v[56:57] op_sel:[0,1]
	v_pk_mov_b32 v[26:27], v[58:59], v[58:59] op_sel:[0,1]
	;; [unrolled: 1-line block ×15, first 2 shown]
	v_accvgpr_mov_b32 a145, a97
	v_accvgpr_mov_b32 a144, a96
	;; [unrolled: 1-line block ×32, first 2 shown]
	v_pk_mov_b32 v[240:241], v[84:85], v[84:85] op_sel:[0,1]
	v_pk_mov_b32 v[84:85], v[80:81], v[80:81] op_sel:[0,1]
	v_accvgpr_read_b32 v236, a112
	v_accvgpr_mov_b32 a158, a110
	v_accvgpr_mov_b32 a157, a109
	;; [unrolled: 1-line block ×30, first 2 shown]
.LBB18_48:
	s_or_b64 exec, exec, s[4:5]
	v_accvgpr_mov_b32 a201, a97
	v_cmp_lt_f64_e32 vcc, v[82:83], v[176:177]
	v_pk_mov_b32 v[244:245], v[82:83], v[82:83] op_sel:[0,1]
	v_accvgpr_mov_b32 a200, a96
	s_and_saveexec_b64 s[4:5], vcc
	s_cbranch_execz .LBB18_50
; %bb.49:
	v_accvgpr_write_b32 a201, v73
	v_accvgpr_write_b32 a80, v72
	;; [unrolled: 1-line block ×3, first 2 shown]
	v_mov_b32_e32 v38, v72
	v_mov_b32_e32 v39, v73
	v_accvgpr_mov_b32 a159, a95
	v_accvgpr_write_b32 a200, v72
	v_accvgpr_read_b32 v72, a96
	v_mov_b32_e32 v198, v82
	v_mov_b32_e32 v199, v83
	;; [unrolled: 1-line block ×4, first 2 shown]
	v_accvgpr_read_b32 v22, a64
	v_accvgpr_read_b32 v23, a65
	;; [unrolled: 1-line block ×18, first 2 shown]
	v_mov_b32_e32 v42, v74
	v_mov_b32_e32 v43, v75
	v_accvgpr_mov_b32 a145, a81
	v_accvgpr_mov_b32 a144, a80
	;; [unrolled: 1-line block ×18, first 2 shown]
	v_pk_mov_b32 v[244:245], v[176:177], v[176:177] op_sel:[0,1]
	v_pk_mov_b32 v[176:177], v[82:83], v[82:83] op_sel:[0,1]
	v_accvgpr_read_b32 v73, a97
	v_accvgpr_mov_b32 a158, a94
	v_accvgpr_mov_b32 a157, a93
	;; [unrolled: 1-line block ×13, first 2 shown]
.LBB18_50:
	s_or_b64 exec, exec, s[4:5]
	v_cmp_lt_f64_e32 vcc, v[172:173], v[2:3]
	v_pk_mov_b32 v[214:215], v[172:173], v[172:173] op_sel:[0,1]
	v_pk_mov_b32 v[4:5], v[8:9], v[8:9] op_sel:[0,1]
	s_and_saveexec_b64 s[4:5], vcc
	s_cbranch_execz .LBB18_52
; %bb.51:
	buffer_load_dword v22, off, s[8:11], 0  ; 4-byte Folded Reload
	buffer_load_dword v23, off, s[8:11], 0 offset:4 ; 4-byte Folded Reload
	buffer_load_dword v24, off, s[8:11], 0 offset:8 ; 4-byte Folded Reload
	;; [unrolled: 1-line block ×31, first 2 shown]
	v_accvgpr_read_b32 v56, a98
	v_accvgpr_read_b32 v57, a99
	v_mov_b32_e32 v58, v8
	v_mov_b32_e32 v59, v9
	;; [unrolled: 1-line block ×6, first 2 shown]
	v_accvgpr_read_b32 v64, a170
	v_accvgpr_read_b32 v65, a171
	;; [unrolled: 1-line block ×4, first 2 shown]
	v_mov_b32_e32 v68, v236
	v_mov_b32_e32 v69, v237
	v_accvgpr_read_b32 v70, a200
	v_accvgpr_read_b32 v71, a201
	;; [unrolled: 1-line block ×6, first 2 shown]
	v_mov_b32_e32 v18, v8
	v_mov_b32_e32 v19, v9
	v_accvgpr_write_b32 a100, v8
	v_accvgpr_write_b32 a101, v9
	v_mov_b32_e32 v102, v8
	v_mov_b32_e32 v103, v9
	;; [unrolled: 1-line block ×4, first 2 shown]
	v_accvgpr_write_b32 a164, v8
	v_accvgpr_write_b32 a165, v9
	v_accvgpr_write_b32 a166, v20
	v_accvgpr_write_b32 a167, v21
	v_accvgpr_write_b32 a206, v8
	v_accvgpr_write_b32 a207, v9
	v_accvgpr_write_b32 a208, v20
	v_accvgpr_write_b32 a209, v21
	v_mov_b32_e32 v226, v8
	v_mov_b32_e32 v227, v9
	;; [unrolled: 1-line block ×4, first 2 shown]
	v_accvgpr_write_b32 a188, v8
	v_accvgpr_write_b32 a189, v9
	;; [unrolled: 1-line block ×4, first 2 shown]
	v_accvgpr_mov_b32 a204, a98
	v_accvgpr_mov_b32 a205, a99
	v_accvgpr_write_b32 a210, v106
	v_accvgpr_write_b32 a211, v107
	v_accvgpr_mov_b32 a212, a170
	v_accvgpr_mov_b32 a213, a171
	v_accvgpr_read_b32 v100, a98
	v_accvgpr_read_b32 v101, a99
	v_accvgpr_mov_b32 a162, a98
	v_accvgpr_mov_b32 a163, a99
	v_accvgpr_write_b32 a168, v106
	v_accvgpr_write_b32 a169, v107
	v_accvgpr_read_b32 v224, a98
	v_accvgpr_read_b32 v225, a99
	v_mov_b32_e32 v230, v106
	v_mov_b32_e32 v231, v107
	v_accvgpr_read_b32 v232, a170
	v_accvgpr_read_b32 v233, a171
	;; [unrolled: 1-line block ×4, first 2 shown]
	v_accvgpr_mov_b32 a186, a98
	v_accvgpr_mov_b32 a187, a99
	v_accvgpr_write_b32 a192, v106
	v_accvgpr_write_b32 a193, v107
	v_accvgpr_mov_b32 a194, a170
	v_accvgpr_mov_b32 a195, a171
	;; [unrolled: 1-line block ×4, first 2 shown]
	v_accvgpr_write_b32 a198, v236
	v_accvgpr_write_b32 a199, v237
	v_mov_b32_e32 v184, v172
	v_mov_b32_e32 v185, v173
	;; [unrolled: 1-line block ×4, first 2 shown]
	v_pk_mov_b32 v[214:215], v[2:3], v[2:3] op_sel:[0,1]
	s_waitcnt vmcnt(30)
	v_pk_mov_b32 v[10:11], v[22:23], v[22:23] op_sel:[0,1]
	v_mov_b32_e32 v54, v10
	v_mov_b32_e32 v55, v11
	s_waitcnt vmcnt(0)
	v_pk_mov_b32 v[22:23], v[54:55], v[54:55] op_sel:[0,1]
	v_pk_mov_b32 v[44:45], v[76:77], v[76:77] op_sel:[0,1]
	v_mov_b32_e32 v14, v10
	v_mov_b32_e32 v15, v11
	v_pk_mov_b32 v[24:25], v[56:57], v[56:57] op_sel:[0,1]
	v_pk_mov_b32 v[26:27], v[58:59], v[58:59] op_sel:[0,1]
	v_pk_mov_b32 v[28:29], v[60:61], v[60:61] op_sel:[0,1]
	v_pk_mov_b32 v[30:31], v[62:63], v[62:63] op_sel:[0,1]
	v_pk_mov_b32 v[32:33], v[64:65], v[64:65] op_sel:[0,1]
	v_pk_mov_b32 v[34:35], v[66:67], v[66:67] op_sel:[0,1]
	v_pk_mov_b32 v[36:37], v[68:69], v[68:69] op_sel:[0,1]
	v_pk_mov_b32 v[38:39], v[70:71], v[70:71] op_sel:[0,1]
	v_pk_mov_b32 v[40:41], v[72:73], v[72:73] op_sel:[0,1]
	v_pk_mov_b32 v[42:43], v[74:75], v[74:75] op_sel:[0,1]
	v_pk_mov_b32 v[170:171], v[44:45], v[44:45] op_sel:[0,1]
	v_pk_mov_b32 v[4:5], v[10:11], v[10:11] op_sel:[0,1]
	v_accvgpr_write_b32 a96, v10
	v_accvgpr_write_b32 a97, v11
	v_mov_b32_e32 v98, v10
	v_mov_b32_e32 v99, v11
	v_accvgpr_write_b32 a160, v10
	v_accvgpr_write_b32 a161, v11
	;; [unrolled: 1-line block ×4, first 2 shown]
	v_mov_b32_e32 v222, v10
	v_mov_b32_e32 v223, v11
	v_accvgpr_write_b32 a184, v10
	v_accvgpr_write_b32 a185, v11
	v_pk_mov_b32 v[168:169], v[42:43], v[42:43] op_sel:[0,1]
	v_pk_mov_b32 v[166:167], v[40:41], v[40:41] op_sel:[0,1]
	;; [unrolled: 1-line block ×15, first 2 shown]
	buffer_store_dword v4, off, s[8:11], 0  ; 4-byte Folded Spill
	s_nop 0
	buffer_store_dword v5, off, s[8:11], 0 offset:4 ; 4-byte Folded Spill
	buffer_store_dword v6, off, s[8:11], 0 offset:8 ; 4-byte Folded Spill
	;; [unrolled: 1-line block ×32, first 2 shown]
	s_nop 0
	buffer_store_dword v11, off, s[8:11], 0 offset:132 ; 4-byte Folded Spill
	buffer_store_dword v12, off, s[8:11], 0 offset:136 ; 4-byte Folded Spill
	;; [unrolled: 1-line block ×31, first 2 shown]
	v_accvgpr_mov_b32 a32, a202
	v_accvgpr_mov_b32 a33, a203
	;; [unrolled: 1-line block ×32, first 2 shown]
	v_accvgpr_write_b32 a255, v129
	v_accvgpr_write_b32 a254, v128
	;; [unrolled: 1-line block ×32, first 2 shown]
	v_accvgpr_read_b32 v139, a127
	v_accvgpr_read_b32 v4, a98
	v_accvgpr_mov_b32 a128, a184
	v_accvgpr_write_b32 a64, v222
	v_accvgpr_mov_b32 a0, a160
	v_accvgpr_read_b32 v138, a126
	v_accvgpr_read_b32 v137, a125
	;; [unrolled: 1-line block ×32, first 2 shown]
	v_accvgpr_write_b32 a99, v9
	v_accvgpr_mov_b32 a129, a185
	v_accvgpr_mov_b32 a130, a186
	;; [unrolled: 1-line block ×17, first 2 shown]
	v_accvgpr_write_b32 a65, v223
	v_accvgpr_write_b32 a66, v224
	;; [unrolled: 1-line block ×15, first 2 shown]
	v_accvgpr_mov_b32 a1, a161
	v_accvgpr_mov_b32 a2, a162
	;; [unrolled: 1-line block ×11, first 2 shown]
	v_pk_mov_b32 v[2:3], v[172:173], v[172:173] op_sel:[0,1]
	v_accvgpr_write_b32 a98, v8
	v_pk_mov_b32 v[46:47], v[78:79], v[78:79] op_sel:[0,1]
	v_pk_mov_b32 v[48:49], v[80:81], v[80:81] op_sel:[0,1]
	;; [unrolled: 1-line block ×4, first 2 shown]
	v_accvgpr_mov_b32 a146, a202
	v_accvgpr_mov_b32 a147, a203
	v_accvgpr_mov_b32 a148, a204
	v_accvgpr_mov_b32 a149, a205
	v_accvgpr_mov_b32 a150, a206
	v_accvgpr_mov_b32 a151, a207
	v_accvgpr_mov_b32 a152, a208
	v_accvgpr_mov_b32 a153, a209
	v_accvgpr_mov_b32 a154, a210
	v_accvgpr_mov_b32 a155, a211
	v_accvgpr_mov_b32 a156, a212
	v_accvgpr_mov_b32 a157, a213
	v_accvgpr_mov_b32 a158, a214
	v_accvgpr_mov_b32 a159, a215
	v_accvgpr_write_b32 a80, v238
	v_accvgpr_write_b32 a81, v239
	;; [unrolled: 1-line block ×16, first 2 shown]
	v_accvgpr_mov_b32 a12, a172
	v_accvgpr_mov_b32 a13, a173
	;; [unrolled: 1-line block ×20, first 2 shown]
.LBB18_52:
	s_or_b64 exec, exec, s[4:5]
	v_accvgpr_write_b32 a183, v21
	v_cmp_lt_f64_e32 vcc, v[174:175], v[178:179]
	v_pk_mov_b32 v[216:217], v[174:175], v[174:175] op_sel:[0,1]
	v_accvgpr_write_b32 a182, v20
	s_and_saveexec_b64 s[4:5], vcc
	s_cbranch_execz .LBB18_54
; %bb.53:
	v_accvgpr_write_b32 a160, v108
	v_accvgpr_write_b32 a161, v109
	;; [unrolled: 1-line block ×11, first 2 shown]
	v_mov_b32_e32 v222, v108
	v_accvgpr_write_b32 a184, v108
	v_accvgpr_write_b32 a185, v109
	;; [unrolled: 1-line block ×8, first 2 shown]
	v_mov_b32_e32 v54, v108
	v_mov_b32_e32 v55, v109
	v_accvgpr_mov_b32 a0, a160
	s_waitcnt vmcnt(57)
	v_mov_b32_e32 v114, v106
	s_waitcnt vmcnt(56)
	v_mov_b32_e32 v115, v107
	v_accvgpr_write_b32 a224, v108
	v_accvgpr_write_b32 a225, v109
	;; [unrolled: 1-line block ×19, first 2 shown]
	v_accvgpr_mov_b32 a212, a170
	v_accvgpr_mov_b32 a213, a171
	v_mov_b32_e32 v223, v109
	v_mov_b32_e32 v224, v110
	;; [unrolled: 1-line block ×9, first 2 shown]
	v_accvgpr_read_b32 v232, a170
	v_accvgpr_read_b32 v233, a171
	;; [unrolled: 1-line block ×4, first 2 shown]
	v_accvgpr_write_b32 a192, v20
	v_accvgpr_write_b32 a193, v21
	v_accvgpr_mov_b32 a194, a170
	v_accvgpr_mov_b32 a195, a171
	;; [unrolled: 1-line block ×4, first 2 shown]
	v_accvgpr_write_b32 a198, v236
	v_accvgpr_write_b32 a199, v237
	v_mov_b32_e32 v56, v110
	v_mov_b32_e32 v57, v111
	;; [unrolled: 1-line block ×8, first 2 shown]
	v_accvgpr_read_b32 v64, a170
	v_accvgpr_read_b32 v65, a171
	;; [unrolled: 1-line block ×4, first 2 shown]
	v_mov_b32_e32 v68, v236
	v_mov_b32_e32 v69, v237
	v_accvgpr_read_b32 v70, a200
	v_accvgpr_read_b32 v71, a201
	v_pk_mov_b32 v[22:23], v[54:55], v[54:55] op_sel:[0,1]
	v_accvgpr_mov_b32 a128, a184
	v_accvgpr_write_b32 a64, v222
	v_accvgpr_mov_b32 a32, a202
	v_accvgpr_mov_b32 a1, a161
	;; [unrolled: 1-line block ×32, first 2 shown]
	s_waitcnt vmcnt(32)
	v_pk_mov_b32 v[170:171], v[138:139], v[138:139] op_sel:[0,1]
	v_accvgpr_write_b32 a183, v107
	v_mov_b32_e32 v188, v174
	v_mov_b32_e32 v189, v175
	;; [unrolled: 1-line block ×4, first 2 shown]
	v_pk_mov_b32 v[24:25], v[56:57], v[56:57] op_sel:[0,1]
	v_pk_mov_b32 v[26:27], v[58:59], v[58:59] op_sel:[0,1]
	;; [unrolled: 1-line block ×10, first 2 shown]
	v_accvgpr_mov_b32 a129, a185
	v_accvgpr_mov_b32 a130, a186
	v_accvgpr_mov_b32 a131, a187
	v_accvgpr_mov_b32 a132, a188
	v_accvgpr_mov_b32 a133, a189
	v_accvgpr_mov_b32 a134, a190
	v_accvgpr_mov_b32 a135, a191
	v_accvgpr_mov_b32 a136, a192
	v_accvgpr_mov_b32 a137, a193
	v_accvgpr_mov_b32 a138, a194
	v_accvgpr_mov_b32 a139, a195
	v_accvgpr_mov_b32 a140, a196
	v_accvgpr_mov_b32 a141, a197
	v_accvgpr_mov_b32 a142, a198
	v_accvgpr_mov_b32 a143, a199
	v_accvgpr_mov_b32 a144, a200
	v_accvgpr_mov_b32 a145, a201
	v_accvgpr_write_b32 a65, v223
	v_accvgpr_write_b32 a66, v224
	;; [unrolled: 1-line block ×15, first 2 shown]
	v_accvgpr_mov_b32 a33, a203
	v_accvgpr_mov_b32 a34, a204
	;; [unrolled: 1-line block ×13, first 2 shown]
	v_pk_mov_b32 v[146:147], v[114:115], v[114:115] op_sel:[0,1]
	v_pk_mov_b32 v[144:145], v[112:113], v[112:113] op_sel:[0,1]
	;; [unrolled: 1-line block ×6, first 2 shown]
	v_accvgpr_write_b32 a182, v106
	v_pk_mov_b32 v[106:107], v[20:21], v[20:21] op_sel:[0,1]
	v_pk_mov_b32 v[44:45], v[76:77], v[76:77] op_sel:[0,1]
	;; [unrolled: 1-line block ×6, first 2 shown]
	v_accvgpr_mov_b32 a146, a202
	v_accvgpr_mov_b32 a147, a203
	;; [unrolled: 1-line block ×14, first 2 shown]
	v_accvgpr_write_b32 a80, v238
	v_accvgpr_write_b32 a81, v239
	v_accvgpr_write_b32 a82, v240
	v_accvgpr_write_b32 a83, v241
	v_accvgpr_write_b32 a84, v242
	v_accvgpr_write_b32 a85, v243
	v_accvgpr_write_b32 a86, v244
	v_accvgpr_write_b32 a87, v245
	v_accvgpr_write_b32 a88, v246
	v_accvgpr_write_b32 a89, v247
	v_accvgpr_write_b32 a90, v248
	v_accvgpr_write_b32 a91, v249
	v_accvgpr_write_b32 a92, v250
	v_accvgpr_write_b32 a93, v251
	v_accvgpr_write_b32 a94, v252
	v_accvgpr_write_b32 a95, v253
	v_accvgpr_mov_b32 a46, a216
	v_accvgpr_mov_b32 a47, a217
	;; [unrolled: 1-line block ×18, first 2 shown]
	v_pk_mov_b32 v[168:169], v[136:137], v[136:137] op_sel:[0,1]
	v_pk_mov_b32 v[166:167], v[134:135], v[134:135] op_sel:[0,1]
	;; [unrolled: 1-line block ×11, first 2 shown]
.LBB18_54:
	s_or_b64 exec, exec, s[4:5]
	v_accvgpr_read_b32 v20, a170
	v_cmp_lt_f64_e32 vcc, v[84:85], v[180:181]
	v_pk_mov_b32 v[248:249], v[84:85], v[84:85] op_sel:[0,1]
	v_accvgpr_read_b32 v21, a171
	s_and_saveexec_b64 s[4:5], vcc
	s_cbranch_execz .LBB18_56
; %bb.55:
	v_accvgpr_mov_b32 a184, a224
	v_accvgpr_read_b32 v222, a224
	v_accvgpr_mov_b32 a185, a225
	v_accvgpr_mov_b32 a186, a226
	;; [unrolled: 1-line block ×13, first 2 shown]
	v_accvgpr_write_b32 a198, v236
	v_accvgpr_write_b32 a199, v237
	v_accvgpr_read_b32 v54, a224
	v_accvgpr_read_b32 v55, a225
	v_accvgpr_mov_b32 a128, a184
	v_accvgpr_read_b32 v20, a214
	v_accvgpr_mov_b32 a234, a214
	v_accvgpr_mov_b32 a235, a215
	;; [unrolled: 1-line block ×4, first 2 shown]
	v_accvgpr_read_b32 v223, a225
	v_accvgpr_read_b32 v224, a226
	;; [unrolled: 1-line block ×25, first 2 shown]
	v_mov_b32_e32 v68, v236
	v_mov_b32_e32 v69, v237
	v_accvgpr_read_b32 v70, a200
	v_accvgpr_read_b32 v71, a201
	v_pk_mov_b32 v[22:23], v[54:55], v[54:55] op_sel:[0,1]
	v_accvgpr_mov_b32 a129, a185
	v_accvgpr_mov_b32 a130, a186
	;; [unrolled: 1-line block ×31, first 2 shown]
	v_accvgpr_write_b32 a64, v222
	v_accvgpr_mov_b32 a0, a224
	v_accvgpr_read_b32 v21, a215
	v_accvgpr_mov_b32 a215, a171
	v_mov_b32_e32 v192, v84
	v_mov_b32_e32 v193, v85
	;; [unrolled: 1-line block ×4, first 2 shown]
	v_accvgpr_mov_b32 a32, a224
	v_accvgpr_mov_b32 a33, a225
	;; [unrolled: 1-line block ×12, first 2 shown]
	v_pk_mov_b32 v[24:25], v[56:57], v[56:57] op_sel:[0,1]
	v_pk_mov_b32 v[26:27], v[58:59], v[58:59] op_sel:[0,1]
	v_pk_mov_b32 v[28:29], v[60:61], v[60:61] op_sel:[0,1]
	v_pk_mov_b32 v[30:31], v[62:63], v[62:63] op_sel:[0,1]
	v_pk_mov_b32 v[32:33], v[64:65], v[64:65] op_sel:[0,1]
	v_pk_mov_b32 v[34:35], v[66:67], v[66:67] op_sel:[0,1]
	v_pk_mov_b32 v[36:37], v[68:69], v[68:69] op_sel:[0,1]
	v_pk_mov_b32 v[38:39], v[70:71], v[70:71] op_sel:[0,1]
	v_pk_mov_b32 v[40:41], v[72:73], v[72:73] op_sel:[0,1]
	v_pk_mov_b32 v[42:43], v[74:75], v[74:75] op_sel:[0,1]
	v_accvgpr_write_b32 a65, v223
	v_accvgpr_write_b32 a66, v224
	;; [unrolled: 1-line block ×31, first 2 shown]
	v_accvgpr_mov_b32 a1, a225
	v_accvgpr_mov_b32 a2, a226
	;; [unrolled: 1-line block ×11, first 2 shown]
	v_pk_mov_b32 v[248:249], v[180:181], v[180:181] op_sel:[0,1]
	v_pk_mov_b32 v[180:181], v[84:85], v[84:85] op_sel:[0,1]
	v_accvgpr_mov_b32 a214, a170
	v_pk_mov_b32 v[44:45], v[76:77], v[76:77] op_sel:[0,1]
	v_pk_mov_b32 v[46:47], v[78:79], v[78:79] op_sel:[0,1]
	;; [unrolled: 1-line block ×5, first 2 shown]
	v_accvgpr_mov_b32 a12, a236
	v_accvgpr_mov_b32 a13, a237
	;; [unrolled: 1-line block ×20, first 2 shown]
.LBB18_56:
	s_or_b64 exec, exec, s[4:5]
	v_accvgpr_write_b32 a174, v236
	v_cmp_lt_f64_e32 vcc, v[176:177], v[240:241]
	v_pk_mov_b32 v[174:175], v[176:177], v[176:177] op_sel:[0,1]
	v_accvgpr_write_b32 a175, v237
	s_and_saveexec_b64 s[4:5], vcc
	s_cbranch_execz .LBB18_58
; %bb.57:
	v_accvgpr_read_b32 v54, a32
	v_accvgpr_read_b32 v55, a33
	v_accvgpr_mov_b32 a174, a200
	v_accvgpr_mov_b32 a46, a200
	;; [unrolled: 1-line block ×5, first 2 shown]
	v_accvgpr_read_b32 v56, a34
	v_accvgpr_read_b32 v57, a35
	;; [unrolled: 1-line block ×14, first 2 shown]
	v_mov_b32_e32 v70, v236
	v_mov_b32_e32 v71, v237
	v_pk_mov_b32 v[22:23], v[54:55], v[54:55] op_sel:[0,1]
	v_accvgpr_mov_b32 a95, a63
	v_accvgpr_mov_b32 a175, a201
	v_accvgpr_write_b32 a200, v236
	v_mov_b32_e32 v196, v176
	v_mov_b32_e32 v197, v177
	;; [unrolled: 1-line block ×4, first 2 shown]
	v_accvgpr_mov_b32 a128, a32
	v_accvgpr_mov_b32 a129, a33
	;; [unrolled: 1-line block ×14, first 2 shown]
	v_accvgpr_write_b32 a144, v236
	v_accvgpr_write_b32 a145, v237
	v_pk_mov_b32 v[24:25], v[56:57], v[56:57] op_sel:[0,1]
	v_pk_mov_b32 v[26:27], v[58:59], v[58:59] op_sel:[0,1]
	;; [unrolled: 1-line block ×10, first 2 shown]
	v_accvgpr_mov_b32 a79, a47
	v_accvgpr_mov_b32 a78, a46
	;; [unrolled: 1-line block ×16, first 2 shown]
	v_pk_mov_b32 v[174:175], v[240:241], v[240:241] op_sel:[0,1]
	v_pk_mov_b32 v[240:241], v[176:177], v[176:177] op_sel:[0,1]
	v_accvgpr_write_b32 a201, v237
	v_pk_mov_b32 v[44:45], v[76:77], v[76:77] op_sel:[0,1]
	v_pk_mov_b32 v[46:47], v[78:79], v[78:79] op_sel:[0,1]
	;; [unrolled: 1-line block ×5, first 2 shown]
	v_accvgpr_mov_b32 a94, a62
	v_accvgpr_mov_b32 a93, a61
	v_accvgpr_mov_b32 a92, a60
	v_accvgpr_mov_b32 a91, a59
	v_accvgpr_mov_b32 a90, a58
	v_accvgpr_mov_b32 a89, a57
	v_accvgpr_mov_b32 a88, a56
	v_accvgpr_mov_b32 a87, a55
	v_accvgpr_mov_b32 a86, a54
	v_accvgpr_mov_b32 a85, a53
	v_accvgpr_mov_b32 a84, a52
	v_accvgpr_mov_b32 a83, a51
	v_accvgpr_mov_b32 a82, a50
	v_accvgpr_mov_b32 a81, a49
	v_accvgpr_mov_b32 a80, a48
.LBB18_58:
	s_or_b64 exec, exec, s[4:5]
	v_cmp_lt_f64_e32 vcc, v[0:1], v[244:245]
	v_pk_mov_b32 v[172:173], v[0:1], v[0:1] op_sel:[0,1]
	v_pk_mov_b32 v[236:237], v[72:73], v[72:73] op_sel:[0,1]
	s_and_saveexec_b64 s[4:5], vcc
	s_cbranch_execz .LBB18_60
; %bb.59:
	v_accvgpr_write_b32 a146, v74
	v_accvgpr_write_b32 a147, v75
	v_accvgpr_write_b32 a148, v72
	v_accvgpr_write_b32 a149, v73
	v_accvgpr_read_b32 v22, a128
	v_mov_b32_e32 v200, v0
	v_mov_b32_e32 v201, v1
	;; [unrolled: 1-line block ×4, first 2 shown]
	v_accvgpr_read_b32 v23, a129
	v_accvgpr_read_b32 v24, a130
	;; [unrolled: 1-line block ×21, first 2 shown]
	v_pk_mov_b32 v[172:173], v[244:245], v[244:245] op_sel:[0,1]
	v_pk_mov_b32 v[244:245], v[0:1], v[0:1] op_sel:[0,1]
	;; [unrolled: 1-line block ×4, first 2 shown]
	v_accvgpr_read_b32 v44, a150
	v_accvgpr_read_b32 v45, a151
	;; [unrolled: 1-line block ×10, first 2 shown]
.LBB18_60:
	s_or_b64 exec, exec, s[4:5]
	v_pk_mov_b32 v[78:79], v[88:89], v[88:89] op_sel:[0,1]
	v_cmp_lt_f64_e32 vcc, v[2:3], v[78:79]
	v_pk_mov_b32 v[80:81], v[88:89], v[88:89] op_sel:[0,1]
	v_pk_mov_b32 v[8:9], v[6:7], v[6:7] op_sel:[0,1]
	s_and_saveexec_b64 s[4:5], vcc
	s_cbranch_execz .LBB18_62
; %bb.61:
	v_accvgpr_write_b32 a202, v4
	v_mov_b32_e32 v218, v4
	v_mov_b32_e32 v219, v5
	v_accvgpr_write_b32 a203, v5
	v_accvgpr_write_b32 a204, v6
	;; [unrolled: 1-line block ×3, first 2 shown]
	v_accvgpr_mov_b32 a206, a98
	v_accvgpr_mov_b32 a207, a99
	;; [unrolled: 1-line block ×4, first 2 shown]
	v_accvgpr_write_b32 a210, v106
	v_accvgpr_write_b32 a211, v107
	;; [unrolled: 1-line block ×4, first 2 shown]
	v_mov_b32_e32 v220, v6
	v_mov_b32_e32 v221, v7
	v_accvgpr_read_b32 v222, a98
	v_accvgpr_read_b32 v223, a99
	v_accvgpr_read_b32 v224, a182
	v_accvgpr_read_b32 v225, a183
	v_mov_b32_e32 v226, v106
	v_mov_b32_e32 v227, v107
	;; [unrolled: 1-line block ×4, first 2 shown]
	v_accvgpr_read_b32 v230, a214
	v_accvgpr_read_b32 v231, a215
	;; [unrolled: 1-line block ×6, first 2 shown]
	v_mov_b32_e32 v238, v74
	v_mov_b32_e32 v239, v75
	v_pk_mov_b32 v[22:23], v[218:219], v[218:219] op_sel:[0,1]
	v_accvgpr_mov_b32 a32, a202
	v_mov_b32_e32 v98, v4
	v_mov_b32_e32 v99, v5
	;; [unrolled: 1-line block ×4, first 2 shown]
	v_accvgpr_read_b32 v102, a98
	v_accvgpr_read_b32 v103, a99
	;; [unrolled: 1-line block ×4, first 2 shown]
	v_mov_b32_e32 v10, v4
	v_pk_mov_b32 v[34:35], v[230:231], v[230:231] op_sel:[0,1]
	v_accvgpr_mov_b32 a33, a203
	v_accvgpr_mov_b32 a34, a204
	;; [unrolled: 1-line block ×31, first 2 shown]
	s_waitcnt vmcnt(42)
	v_accvgpr_write_b32 a255, v129
	v_accvgpr_read_b32 v8, a98
	v_accvgpr_read_b32 v9, a99
	v_mov_b32_e32 v11, v5
	v_mov_b32_e32 v12, v6
	v_mov_b32_e32 v13, v7
	v_accvgpr_read_b32 v14, a98
	v_accvgpr_read_b32 v15, a99
	;; [unrolled: 1-line block ×4, first 2 shown]
	v_mov_b32_e32 v18, v106
	v_mov_b32_e32 v19, v107
	v_pk_mov_b32 v[24:25], v[220:221], v[220:221] op_sel:[0,1]
	v_pk_mov_b32 v[26:27], v[222:223], v[222:223] op_sel:[0,1]
	;; [unrolled: 1-line block ×8, first 2 shown]
	v_accvgpr_write_b32 a0, v10
	v_accvgpr_write_b32 a254, v128
	;; [unrolled: 1-line block ×32, first 2 shown]
	s_waitcnt vmcnt(32)
	v_pk_mov_b32 v[138:139], v[34:35], v[34:35] op_sel:[0,1]
	v_accvgpr_write_b32 a176, v4
	v_accvgpr_write_b32 a177, v5
	;; [unrolled: 1-line block ×47, first 2 shown]
	v_pk_mov_b32 v[136:137], v[32:33], v[32:33] op_sel:[0,1]
	v_pk_mov_b32 v[134:135], v[30:31], v[30:31] op_sel:[0,1]
	v_pk_mov_b32 v[132:133], v[28:29], v[28:29] op_sel:[0,1]
	v_pk_mov_b32 v[130:131], v[26:27], v[26:27] op_sel:[0,1]
	v_pk_mov_b32 v[128:129], v[24:25], v[24:25] op_sel:[0,1]
	v_pk_mov_b32 v[126:127], v[22:23], v[22:23] op_sel:[0,1]
	v_pk_mov_b32 v[124:125], v[20:21], v[20:21] op_sel:[0,1]
	v_pk_mov_b32 v[122:123], v[18:19], v[18:19] op_sel:[0,1]
	v_pk_mov_b32 v[120:121], v[16:17], v[16:17] op_sel:[0,1]
	v_pk_mov_b32 v[118:119], v[14:15], v[14:15] op_sel:[0,1]
	v_pk_mov_b32 v[116:117], v[12:13], v[12:13] op_sel:[0,1]
	v_pk_mov_b32 v[114:115], v[10:11], v[10:11] op_sel:[0,1]
	v_pk_mov_b32 v[112:113], v[8:9], v[8:9] op_sel:[0,1]
	v_pk_mov_b32 v[110:111], v[6:7], v[6:7] op_sel:[0,1]
	v_pk_mov_b32 v[108:109], v[4:5], v[4:5] op_sel:[0,1]
	buffer_store_dword v4, off, s[8:11], 0 offset:128 ; 4-byte Folded Spill
	s_nop 0
	buffer_store_dword v5, off, s[8:11], 0 offset:132 ; 4-byte Folded Spill
	buffer_store_dword v6, off, s[8:11], 0 offset:136 ; 4-byte Folded Spill
	;; [unrolled: 1-line block ×31, first 2 shown]
	buffer_store_dword v4, off, s[8:11], 0  ; 4-byte Folded Spill
	s_nop 0
	buffer_store_dword v5, off, s[8:11], 0 offset:4 ; 4-byte Folded Spill
	buffer_store_dword v6, off, s[8:11], 0 offset:8 ; 4-byte Folded Spill
	;; [unrolled: 1-line block ×31, first 2 shown]
	v_mov_b32_e32 v76, v2
	v_mov_b32_e32 v77, v3
	;; [unrolled: 1-line block ×20, first 2 shown]
	v_accvgpr_mov_b32 a180, a98
	v_accvgpr_mov_b32 a181, a99
	;; [unrolled: 1-line block ×6, first 2 shown]
	v_accvgpr_write_b32 a168, v106
	v_accvgpr_write_b32 a169, v107
	v_accvgpr_mov_b32 a172, a214
	v_accvgpr_mov_b32 a173, a215
	;; [unrolled: 1-line block ×6, first 2 shown]
	v_accvgpr_write_b32 a192, v106
	v_accvgpr_write_b32 a193, v107
	v_accvgpr_mov_b32 a196, a214
	v_accvgpr_mov_b32 a197, a215
	v_accvgpr_mov_b32 a198, a174
	v_accvgpr_mov_b32 a199, a175
	v_accvgpr_mov_b32 a128, a184
	v_accvgpr_mov_b32 a64, a160
	v_accvgpr_read_b32 v140, a176
	v_pk_mov_b32 v[212:213], v[106:107], v[106:107] op_sel:[0,1]
	v_pk_mov_b32 v[42:43], v[238:239], v[238:239] op_sel:[0,1]
	v_accvgpr_mov_b32 a129, a185
	v_accvgpr_mov_b32 a130, a186
	;; [unrolled: 1-line block ×32, first 2 shown]
	v_accvgpr_read_b32 v141, a177
	v_accvgpr_read_b32 v142, a178
	;; [unrolled: 1-line block ×7, first 2 shown]
	v_pk_mov_b32 v[210:211], v[104:105], v[104:105] op_sel:[0,1]
	v_pk_mov_b32 v[208:209], v[102:103], v[102:103] op_sel:[0,1]
	;; [unrolled: 1-line block ×24, first 2 shown]
	v_accvgpr_mov_b32 a146, a202
	v_accvgpr_mov_b32 a147, a203
	;; [unrolled: 1-line block ×30, first 2 shown]
	v_accvgpr_read_b32 v148, a184
	v_accvgpr_read_b32 v149, a185
	;; [unrolled: 1-line block ×24, first 2 shown]
.LBB18_62:
	s_or_b64 exec, exec, s[4:5]
	v_accvgpr_mov_b32 a123, a99
	v_cmp_lt_f64_e32 vcc, v[178:179], v[214:215]
	v_pk_mov_b32 v[0:1], v[178:179], v[178:179] op_sel:[0,1]
	v_accvgpr_mov_b32 a122, a98
	s_and_saveexec_b64 s[4:5], vcc
	s_cbranch_execz .LBB18_64
; %bb.63:
	buffer_load_dword v108, off, s[8:11], 0 offset:128 ; 4-byte Folded Reload
	buffer_load_dword v109, off, s[8:11], 0 offset:132 ; 4-byte Folded Reload
	;; [unrolled: 1-line block ×32, first 2 shown]
	v_accvgpr_read_b32 v222, a182
	v_accvgpr_read_b32 v223, a183
	;; [unrolled: 1-line block ×4, first 2 shown]
	v_mov_b32_e32 v226, v106
	v_mov_b32_e32 v227, v107
	v_mov_b32_e32 v228, v20
	v_mov_b32_e32 v229, v21
	v_accvgpr_read_b32 v230, a214
	v_accvgpr_read_b32 v231, a215
	;; [unrolled: 1-line block ×6, first 2 shown]
	v_mov_b32_e32 v238, v74
	v_mov_b32_e32 v239, v75
	v_accvgpr_read_b32 v14, a182
	v_accvgpr_read_b32 v15, a183
	;; [unrolled: 1-line block ×4, first 2 shown]
	v_mov_b32_e32 v18, v106
	v_mov_b32_e32 v19, v107
	v_accvgpr_mov_b32 a206, a182
	v_accvgpr_mov_b32 a207, a183
	v_accvgpr_mov_b32 a208, a98
	v_accvgpr_mov_b32 a209, a99
	v_accvgpr_write_b32 a210, v106
	v_accvgpr_write_b32 a211, v107
	;; [unrolled: 1-line block ×4, first 2 shown]
	v_accvgpr_mov_b32 a164, a182
	v_accvgpr_mov_b32 a165, a183
	;; [unrolled: 1-line block ×4, first 2 shown]
	v_accvgpr_write_b32 a168, v106
	v_accvgpr_write_b32 a169, v107
	;; [unrolled: 1-line block ×4, first 2 shown]
	v_accvgpr_mov_b32 a172, a214
	v_accvgpr_mov_b32 a173, a215
	v_accvgpr_mov_b32 a188, a182
	v_accvgpr_mov_b32 a189, a183
	v_accvgpr_mov_b32 a190, a98
	v_accvgpr_mov_b32 a191, a99
	v_accvgpr_mov_b32 a122, a182
	s_waitcnt vmcnt(27)
	v_accvgpr_read_b32 v112, a182
	s_waitcnt vmcnt(26)
	v_accvgpr_read_b32 v113, a183
	v_accvgpr_read_b32 v144, a182
	;; [unrolled: 1-line block ×7, first 2 shown]
	v_accvgpr_write_b32 a192, v106
	v_accvgpr_write_b32 a193, v107
	;; [unrolled: 1-line block ×4, first 2 shown]
	v_accvgpr_mov_b32 a196, a214
	v_accvgpr_mov_b32 a197, a215
	;; [unrolled: 1-line block ×5, first 2 shown]
	v_mov_b32_e32 v186, v178
	v_mov_b32_e32 v187, v179
	v_mov_b32_e32 v188, v214
	v_mov_b32_e32 v189, v215
	v_accvgpr_read_b32 v146, a98
	v_accvgpr_read_b32 v147, a99
	v_pk_mov_b32 v[0:1], v[214:215], v[214:215] op_sel:[0,1]
	v_pk_mov_b32 v[214:215], v[178:179], v[178:179] op_sel:[0,1]
	v_mov_b32_e32 v218, v108
	v_mov_b32_e32 v219, v109
	;; [unrolled: 1-line block ×3, first 2 shown]
	v_accvgpr_write_b32 a202, v108
	v_accvgpr_write_b32 a160, v108
	v_mov_b32_e32 v220, v110
	v_mov_b32_e32 v221, v111
	v_pk_mov_b32 v[22:23], v[218:219], v[218:219] op_sel:[0,1]
	v_mov_b32_e32 v11, v109
	v_mov_b32_e32 v12, v110
	;; [unrolled: 1-line block ×3, first 2 shown]
	v_accvgpr_write_b32 a203, v109
	v_accvgpr_write_b32 a204, v110
	;; [unrolled: 1-line block ×10, first 2 shown]
	v_pk_mov_b32 v[24:25], v[220:221], v[220:221] op_sel:[0,1]
	v_pk_mov_b32 v[26:27], v[222:223], v[222:223] op_sel:[0,1]
	;; [unrolled: 1-line block ×9, first 2 shown]
	v_accvgpr_mov_b32 a64, a160
	v_accvgpr_mov_b32 a32, a202
	v_accvgpr_write_b32 a0, v10
	v_mov_b32_e32 v98, v108
	v_mov_b32_e32 v99, v109
	;; [unrolled: 1-line block ×4, first 2 shown]
	v_accvgpr_mov_b32 a128, a184
	v_accvgpr_mov_b32 a65, a161
	;; [unrolled: 1-line block ×63, first 2 shown]
	v_accvgpr_write_b32 a1, v11
	v_accvgpr_write_b32 a2, v12
	;; [unrolled: 1-line block ×31, first 2 shown]
	s_waitcnt vmcnt(10)
	v_accvgpr_write_b32 a255, v129
	v_pk_mov_b32 v[10:11], v[108:109], v[108:109] op_sel:[0,1]
	v_accvgpr_mov_b32 a183, a99
	v_mov_b32_e32 v140, v108
	v_mov_b32_e32 v141, v109
	;; [unrolled: 1-line block ×4, first 2 shown]
	v_pk_mov_b32 v[42:43], v[238:239], v[238:239] op_sel:[0,1]
	v_accvgpr_mov_b32 a129, a185
	v_accvgpr_mov_b32 a130, a186
	;; [unrolled: 1-line block ×17, first 2 shown]
	v_accvgpr_write_b32 a233, v107
	v_accvgpr_write_b32 a232, v106
	;; [unrolled: 1-line block ×10, first 2 shown]
	v_pk_mov_b32 v[12:13], v[110:111], v[110:111] op_sel:[0,1]
	v_accvgpr_mov_b32 a182, a98
	v_pk_mov_b32 v[44:45], v[240:241], v[240:241] op_sel:[0,1]
	v_pk_mov_b32 v[46:47], v[242:243], v[242:243] op_sel:[0,1]
	;; [unrolled: 1-line block ×5, first 2 shown]
	v_accvgpr_mov_b32 a146, a202
	v_accvgpr_mov_b32 a147, a203
	;; [unrolled: 1-line block ×14, first 2 shown]
	v_accvgpr_write_b32 a254, v128
	v_accvgpr_write_b32 a253, v127
	;; [unrolled: 1-line block ×21, first 2 shown]
	buffer_store_dword v10, off, s[8:11], 0 offset:128 ; 4-byte Folded Spill
	s_nop 0
	buffer_store_dword v11, off, s[8:11], 0 offset:132 ; 4-byte Folded Spill
	buffer_store_dword v12, off, s[8:11], 0 offset:136 ; 4-byte Folded Spill
	buffer_store_dword v13, off, s[8:11], 0 offset:140 ; 4-byte Folded Spill
	buffer_store_dword v14, off, s[8:11], 0 offset:144 ; 4-byte Folded Spill
	buffer_store_dword v15, off, s[8:11], 0 offset:148 ; 4-byte Folded Spill
	buffer_store_dword v16, off, s[8:11], 0 offset:152 ; 4-byte Folded Spill
	buffer_store_dword v17, off, s[8:11], 0 offset:156 ; 4-byte Folded Spill
	buffer_store_dword v18, off, s[8:11], 0 offset:160 ; 4-byte Folded Spill
	buffer_store_dword v19, off, s[8:11], 0 offset:164 ; 4-byte Folded Spill
	buffer_store_dword v20, off, s[8:11], 0 offset:168 ; 4-byte Folded Spill
	buffer_store_dword v21, off, s[8:11], 0 offset:172 ; 4-byte Folded Spill
	buffer_store_dword v22, off, s[8:11], 0 offset:176 ; 4-byte Folded Spill
	buffer_store_dword v23, off, s[8:11], 0 offset:180 ; 4-byte Folded Spill
	buffer_store_dword v24, off, s[8:11], 0 offset:184 ; 4-byte Folded Spill
	buffer_store_dword v25, off, s[8:11], 0 offset:188 ; 4-byte Folded Spill
	buffer_store_dword v26, off, s[8:11], 0 offset:192 ; 4-byte Folded Spill
	buffer_store_dword v27, off, s[8:11], 0 offset:196 ; 4-byte Folded Spill
	buffer_store_dword v28, off, s[8:11], 0 offset:200 ; 4-byte Folded Spill
	buffer_store_dword v29, off, s[8:11], 0 offset:204 ; 4-byte Folded Spill
	buffer_store_dword v30, off, s[8:11], 0 offset:208 ; 4-byte Folded Spill
	buffer_store_dword v31, off, s[8:11], 0 offset:212 ; 4-byte Folded Spill
	buffer_store_dword v32, off, s[8:11], 0 offset:216 ; 4-byte Folded Spill
	buffer_store_dword v33, off, s[8:11], 0 offset:220 ; 4-byte Folded Spill
	buffer_store_dword v34, off, s[8:11], 0 offset:224 ; 4-byte Folded Spill
	buffer_store_dword v35, off, s[8:11], 0 offset:228 ; 4-byte Folded Spill
	buffer_store_dword v36, off, s[8:11], 0 offset:232 ; 4-byte Folded Spill
	buffer_store_dword v37, off, s[8:11], 0 offset:236 ; 4-byte Folded Spill
	buffer_store_dword v38, off, s[8:11], 0 offset:240 ; 4-byte Folded Spill
	buffer_store_dword v39, off, s[8:11], 0 offset:244 ; 4-byte Folded Spill
	buffer_store_dword v40, off, s[8:11], 0 offset:248 ; 4-byte Folded Spill
	buffer_store_dword v41, off, s[8:11], 0 offset:252 ; 4-byte Folded Spill
.LBB18_64:
	s_or_b64 exec, exec, s[4:5]
	v_accvgpr_write_b32 a104, v106
	v_cmp_lt_f64_e32 vcc, v[180:181], v[216:217]
	v_pk_mov_b32 v[76:77], v[180:181], v[180:181] op_sel:[0,1]
	v_accvgpr_write_b32 a105, v107
	s_and_saveexec_b64 s[4:5], vcc
	s_cbranch_execz .LBB18_66
; %bb.65:
	v_accvgpr_write_b32 a202, v140
	v_accvgpr_write_b32 a203, v141
	;; [unrolled: 1-line block ×14, first 2 shown]
	v_mov_b32_e32 v218, v140
	v_mov_b32_e32 v219, v141
	v_accvgpr_mov_b32 a32, a202
	v_mov_b32_e32 v148, v20
	v_mov_b32_e32 v149, v21
	v_accvgpr_write_b32 a161, v141
	v_accvgpr_write_b32 a162, v142
	;; [unrolled: 1-line block ×11, first 2 shown]
	v_accvgpr_mov_b32 a172, a214
	v_accvgpr_mov_b32 a173, a215
	v_accvgpr_write_b32 a185, v141
	v_accvgpr_write_b32 a186, v142
	;; [unrolled: 1-line block ×11, first 2 shown]
	v_accvgpr_mov_b32 a196, a214
	v_accvgpr_mov_b32 a197, a215
	;; [unrolled: 1-line block ×4, first 2 shown]
	v_mov_b32_e32 v220, v142
	v_mov_b32_e32 v221, v143
	;; [unrolled: 1-line block ×10, first 2 shown]
	v_accvgpr_read_b32 v230, a214
	v_accvgpr_read_b32 v231, a215
	;; [unrolled: 1-line block ×6, first 2 shown]
	v_mov_b32_e32 v238, v74
	v_mov_b32_e32 v239, v75
	v_pk_mov_b32 v[22:23], v[218:219], v[218:219] op_sel:[0,1]
	v_accvgpr_mov_b32 a128, a184
	v_accvgpr_mov_b32 a64, a160
	;; [unrolled: 1-line block ×33, first 2 shown]
	v_accvgpr_write_b32 a255, v171
	v_accvgpr_write_b32 a105, v21
	v_mov_b32_e32 v190, v180
	v_mov_b32_e32 v191, v181
	;; [unrolled: 1-line block ×4, first 2 shown]
	v_accvgpr_write_b32 a0, v140
	v_accvgpr_write_b32 a1, v141
	;; [unrolled: 1-line block ×12, first 2 shown]
	v_pk_mov_b32 v[24:25], v[220:221], v[220:221] op_sel:[0,1]
	v_pk_mov_b32 v[26:27], v[222:223], v[222:223] op_sel:[0,1]
	;; [unrolled: 1-line block ×10, first 2 shown]
	v_accvgpr_mov_b32 a129, a185
	v_accvgpr_mov_b32 a130, a186
	v_accvgpr_mov_b32 a131, a187
	v_accvgpr_mov_b32 a132, a188
	v_accvgpr_mov_b32 a133, a189
	v_accvgpr_mov_b32 a134, a190
	v_accvgpr_mov_b32 a135, a191
	v_accvgpr_mov_b32 a136, a192
	v_accvgpr_mov_b32 a137, a193
	v_accvgpr_mov_b32 a138, a194
	v_accvgpr_mov_b32 a139, a195
	v_accvgpr_mov_b32 a140, a196
	v_accvgpr_mov_b32 a141, a197
	v_accvgpr_mov_b32 a142, a198
	v_accvgpr_mov_b32 a143, a199
	v_accvgpr_mov_b32 a144, a200
	v_accvgpr_mov_b32 a145, a201
	v_accvgpr_mov_b32 a65, a161
	v_accvgpr_mov_b32 a66, a162
	v_accvgpr_mov_b32 a67, a163
	v_accvgpr_mov_b32 a68, a164
	v_accvgpr_mov_b32 a69, a165
	v_accvgpr_mov_b32 a70, a166
	v_accvgpr_mov_b32 a71, a167
	v_accvgpr_mov_b32 a72, a168
	v_accvgpr_mov_b32 a73, a169
	v_accvgpr_mov_b32 a74, a170
	v_accvgpr_mov_b32 a75, a171
	v_accvgpr_mov_b32 a76, a172
	v_accvgpr_mov_b32 a77, a173
	v_accvgpr_mov_b32 a78, a174
	v_accvgpr_mov_b32 a79, a175
	v_accvgpr_write_b32 a233, v149
	v_accvgpr_write_b32 a232, v148
	;; [unrolled: 1-line block ×10, first 2 shown]
	v_pk_mov_b32 v[76:77], v[216:217], v[216:217] op_sel:[0,1]
	v_pk_mov_b32 v[216:217], v[180:181], v[180:181] op_sel:[0,1]
	v_accvgpr_write_b32 a104, v20
	v_pk_mov_b32 v[20:21], v[106:107], v[106:107] op_sel:[0,1]
	v_pk_mov_b32 v[44:45], v[240:241], v[240:241] op_sel:[0,1]
	;; [unrolled: 1-line block ×6, first 2 shown]
	v_accvgpr_mov_b32 a146, a202
	v_accvgpr_mov_b32 a147, a203
	;; [unrolled: 1-line block ×30, first 2 shown]
	v_accvgpr_write_b32 a254, v170
	v_accvgpr_write_b32 a253, v169
	;; [unrolled: 1-line block ×21, first 2 shown]
.LBB18_66:
	s_or_b64 exec, exec, s[4:5]
	v_accvgpr_mov_b32 a118, a214
	v_cmp_lt_f64_e32 vcc, v[240:241], v[248:249]
	v_pk_mov_b32 v[180:181], v[240:241], v[240:241] op_sel:[0,1]
	v_accvgpr_mov_b32 a119, a215
	s_and_saveexec_b64 s[4:5], vcc
	s_cbranch_execz .LBB18_68
; %bb.67:
	v_accvgpr_mov_b32 a184, a0
	v_accvgpr_read_b32 v218, a0
	v_accvgpr_read_b32 v219, a1
	v_accvgpr_mov_b32 a118, a174
	v_accvgpr_mov_b32 a12, a174
	;; [unrolled: 1-line block ×20, first 2 shown]
	v_accvgpr_read_b32 v220, a2
	v_accvgpr_read_b32 v221, a3
	v_accvgpr_read_b32 v222, a4
	v_accvgpr_read_b32 v223, a5
	v_accvgpr_read_b32 v224, a6
	v_accvgpr_read_b32 v225, a7
	v_accvgpr_read_b32 v226, a8
	v_accvgpr_read_b32 v227, a9
	v_accvgpr_read_b32 v228, a10
	v_accvgpr_read_b32 v229, a11
	v_accvgpr_read_b32 v230, a174
	v_accvgpr_read_b32 v231, a175
	v_accvgpr_read_b32 v232, a214
	v_accvgpr_read_b32 v233, a215
	v_accvgpr_read_b32 v234, a200
	v_accvgpr_read_b32 v235, a201
	v_mov_b32_e32 v238, v74
	v_mov_b32_e32 v239, v75
	v_pk_mov_b32 v[22:23], v[218:219], v[218:219] op_sel:[0,1]
	v_accvgpr_mov_b32 a128, a184
	v_accvgpr_mov_b32 a63, a31
	;; [unrolled: 1-line block ×4, first 2 shown]
	v_mov_b32_e32 v194, v240
	v_mov_b32_e32 v195, v241
	;; [unrolled: 1-line block ×4, first 2 shown]
	v_accvgpr_mov_b32 a64, a0
	v_accvgpr_mov_b32 a65, a1
	;; [unrolled: 1-line block ×14, first 2 shown]
	v_pk_mov_b32 v[24:25], v[220:221], v[220:221] op_sel:[0,1]
	v_pk_mov_b32 v[26:27], v[222:223], v[222:223] op_sel:[0,1]
	;; [unrolled: 1-line block ×15, first 2 shown]
	v_accvgpr_mov_b32 a129, a185
	v_accvgpr_mov_b32 a130, a186
	;; [unrolled: 1-line block ×31, first 2 shown]
	v_pk_mov_b32 v[180:181], v[248:249], v[248:249] op_sel:[0,1]
	v_pk_mov_b32 v[248:249], v[240:241], v[240:241] op_sel:[0,1]
	v_accvgpr_mov_b32 a175, a215
	v_accvgpr_mov_b32 a146, a202
	;; [unrolled: 1-line block ×32, first 2 shown]
.LBB18_68:
	s_or_b64 exec, exec, s[4:5]
	v_accvgpr_read_b32 v70, a200
	v_cmp_lt_f64_e32 vcc, v[244:245], v[174:175]
	v_pk_mov_b32 v[242:243], v[244:245], v[244:245] op_sel:[0,1]
	v_accvgpr_read_b32 v71, a201
	s_and_saveexec_b64 s[4:5], vcc
	s_cbranch_execz .LBB18_70
; %bb.69:
	v_accvgpr_read_b32 v54, a64
	v_accvgpr_read_b32 v55, a65
	;; [unrolled: 1-line block ×16, first 2 shown]
	v_mov_b32_e32 v70, v236
	v_mov_b32_e32 v71, v237
	v_accvgpr_read_b32 v72, a200
	v_accvgpr_read_b32 v73, a201
	v_pk_mov_b32 v[22:23], v[54:55], v[54:55] op_sel:[0,1]
	v_accvgpr_write_b32 a80, v236
	v_accvgpr_write_b32 a81, v237
	v_pk_mov_b32 v[24:25], v[56:57], v[56:57] op_sel:[0,1]
	v_pk_mov_b32 v[26:27], v[58:59], v[58:59] op_sel:[0,1]
	;; [unrolled: 1-line block ×15, first 2 shown]
	v_accvgpr_mov_b32 a159, a95
	v_pk_mov_b32 v[70:71], v[236:237], v[236:237] op_sel:[0,1]
	v_accvgpr_read_b32 v237, a201
	v_mov_b32_e32 v198, v244
	v_mov_b32_e32 v199, v245
	;; [unrolled: 1-line block ×4, first 2 shown]
	v_accvgpr_mov_b32 a145, a81
	v_accvgpr_mov_b32 a144, a80
	;; [unrolled: 1-line block ×18, first 2 shown]
	v_pk_mov_b32 v[242:243], v[174:175], v[174:175] op_sel:[0,1]
	v_pk_mov_b32 v[174:175], v[244:245], v[244:245] op_sel:[0,1]
	v_accvgpr_read_b32 v236, a200
	v_accvgpr_mov_b32 a158, a94
	v_accvgpr_mov_b32 a157, a93
	;; [unrolled: 1-line block ×13, first 2 shown]
.LBB18_70:
	s_or_b64 exec, exec, s[4:5]
	v_cmp_lt_f64_e32 vcc, v[214:215], v[2:3]
	v_pk_mov_b32 v[100:101], v[214:215], v[214:215] op_sel:[0,1]
	v_pk_mov_b32 v[6:7], v[4:5], v[4:5] op_sel:[0,1]
	s_and_saveexec_b64 s[4:5], vcc
	s_cbranch_execz .LBB18_72
; %bb.71:
	buffer_load_dword v98, off, s[8:11], 0  ; 4-byte Folded Reload
	buffer_load_dword v99, off, s[8:11], 0 offset:4 ; 4-byte Folded Reload
	buffer_load_dword v100, off, s[8:11], 0 offset:8 ; 4-byte Folded Reload
	;; [unrolled: 1-line block ×31, first 2 shown]
	v_accvgpr_read_b32 v56, a122
	v_accvgpr_read_b32 v57, a123
	v_mov_b32_e32 v58, v4
	v_mov_b32_e32 v59, v5
	v_accvgpr_read_b32 v60, a182
	v_accvgpr_read_b32 v61, a183
	;; [unrolled: 1-line block ×4, first 2 shown]
	v_mov_b32_e32 v64, v20
	v_mov_b32_e32 v65, v21
	v_accvgpr_read_b32 v66, a118
	v_accvgpr_read_b32 v67, a119
	;; [unrolled: 1-line block ×4, first 2 shown]
	v_accvgpr_write_b32 a124, v4
	v_accvgpr_write_b32 a125, v5
	v_accvgpr_read_b32 v220, a122
	v_accvgpr_read_b32 v221, a123
	v_mov_b32_e32 v222, v4
	v_mov_b32_e32 v223, v5
	v_accvgpr_read_b32 v224, a182
	v_accvgpr_read_b32 v225, a183
	;; [unrolled: 1-line block ×4, first 2 shown]
	v_mov_b32_e32 v228, v20
	v_mov_b32_e32 v229, v21
	v_accvgpr_read_b32 v230, a118
	v_accvgpr_read_b32 v231, a119
	;; [unrolled: 1-line block ×4, first 2 shown]
	v_mov_b32_e32 v234, v70
	v_mov_b32_e32 v235, v71
	;; [unrolled: 1-line block ×4, first 2 shown]
	s_waitcnt vmcnt(29)
	v_accvgpr_read_b32 v100, a122
	s_waitcnt vmcnt(28)
	v_accvgpr_read_b32 v101, a123
	v_accvgpr_read_b32 v12, a122
	v_accvgpr_read_b32 v13, a123
	v_mov_b32_e32 v14, v4
	v_mov_b32_e32 v15, v5
	v_accvgpr_read_b32 v16, a182
	v_accvgpr_read_b32 v17, a183
	v_accvgpr_read_b32 v18, a104
	v_accvgpr_read_b32 v19, a105
	v_accvgpr_write_b32 a116, v20
	v_accvgpr_write_b32 a117, v21
	;; [unrolled: 1-line block ×4, first 2 shown]
	v_accvgpr_mov_b32 a98, a122
	v_accvgpr_mov_b32 a99, a123
	v_accvgpr_write_b32 a100, v4
	v_accvgpr_write_b32 a101, v5
	v_accvgpr_mov_b32 a102, a182
	v_accvgpr_mov_b32 a103, a183
	;; [unrolled: 1-line block ×4, first 2 shown]
	v_accvgpr_write_b32 a110, v4
	v_accvgpr_write_b32 a111, v5
	v_accvgpr_mov_b32 a112, a182
	v_accvgpr_mov_b32 a113, a183
	;; [unrolled: 1-line block ×6, first 2 shown]
	v_accvgpr_write_b32 a180, v4
	v_accvgpr_write_b32 a181, v5
	v_accvgpr_mov_b32 a162, a122
	v_accvgpr_mov_b32 a163, a123
	v_accvgpr_write_b32 a164, v4
	v_accvgpr_write_b32 a165, v5
	v_accvgpr_mov_b32 a166, a182
	v_accvgpr_mov_b32 a167, a183
	v_accvgpr_mov_b32 a168, a104
	v_accvgpr_mov_b32 a169, a105
	v_accvgpr_mov_b32 a172, a118
	v_accvgpr_mov_b32 a173, a119
	v_mov_b32_e32 v184, v214
	v_mov_b32_e32 v185, v215
	;; [unrolled: 1-line block ×3, first 2 shown]
	v_accvgpr_write_b32 a120, v98
	v_mov_b32_e32 v54, v98
	v_mov_b32_e32 v55, v99
	;; [unrolled: 1-line block ×4, first 2 shown]
	v_accvgpr_write_b32 a159, v85
	v_accvgpr_write_b32 a121, v99
	v_mov_b32_e32 v10, v98
	v_pk_mov_b32 v[22:23], v[218:219], v[218:219] op_sel:[0,1]
	v_accvgpr_write_b32 a151, v77
	v_accvgpr_write_b32 a150, v76
	;; [unrolled: 1-line block ×24, first 2 shown]
	s_waitcnt vmcnt(0)
	v_accvgpr_read_b32 v108, a120
	v_mov_b32_e32 v11, v99
	v_pk_mov_b32 v[24:25], v[220:221], v[220:221] op_sel:[0,1]
	v_pk_mov_b32 v[26:27], v[222:223], v[222:223] op_sel:[0,1]
	;; [unrolled: 1-line block ×9, first 2 shown]
	v_accvgpr_write_b32 a0, v10
	v_accvgpr_read_b32 v109, a121
	v_accvgpr_read_b32 v110, a122
	v_accvgpr_read_b32 v111, a123
	v_accvgpr_read_b32 v112, a124
	v_accvgpr_read_b32 v113, a125
	v_accvgpr_read_b32 v114, a126
	v_accvgpr_read_b32 v115, a127
	v_accvgpr_read_b32 v116, a128
	v_accvgpr_read_b32 v117, a129
	v_accvgpr_read_b32 v118, a130
	v_accvgpr_read_b32 v119, a131
	v_accvgpr_read_b32 v120, a132
	v_accvgpr_read_b32 v121, a133
	v_accvgpr_read_b32 v122, a134
	v_accvgpr_read_b32 v123, a135
	v_accvgpr_read_b32 v124, a136
	v_accvgpr_read_b32 v125, a137
	v_accvgpr_read_b32 v126, a138
	v_accvgpr_read_b32 v127, a139
	v_accvgpr_read_b32 v128, a140
	v_accvgpr_read_b32 v129, a141
	v_pk_mov_b32 v[6:7], v[98:99], v[98:99] op_sel:[0,1]
	v_accvgpr_write_b32 a176, v98
	v_accvgpr_write_b32 a177, v99
	;; [unrolled: 1-line block ×39, first 2 shown]
	buffer_store_dword v6, off, s[8:11], 0  ; 4-byte Folded Spill
	s_nop 0
	buffer_store_dword v7, off, s[8:11], 0 offset:4 ; 4-byte Folded Spill
	buffer_store_dword v8, off, s[8:11], 0 offset:8 ; 4-byte Folded Spill
	;; [unrolled: 1-line block ×32, first 2 shown]
	s_nop 0
	buffer_store_dword v99, off, s[8:11], 0 offset:132 ; 4-byte Folded Spill
	buffer_store_dword v100, off, s[8:11], 0 offset:136 ; 4-byte Folded Spill
	;; [unrolled: 1-line block ×31, first 2 shown]
	v_accvgpr_mov_b32 a32, a106
	v_accvgpr_mov_b32 a255, a127
	v_accvgpr_read_b32 v6, a122
	v_accvgpr_mov_b32 a64, a160
	v_accvgpr_mov_b32 a33, a107
	;; [unrolled: 1-line block ×63, first 2 shown]
	v_accvgpr_read_b32 v140, a176
	v_accvgpr_read_b32 v130, a142
	;; [unrolled: 1-line block ×12, first 2 shown]
	v_accvgpr_write_b32 a123, v5
	v_mov_b32_e32 v187, v3
	v_pk_mov_b32 v[42:43], v[238:239], v[238:239] op_sel:[0,1]
	v_accvgpr_mov_b32 a65, a161
	v_accvgpr_mov_b32 a66, a162
	;; [unrolled: 1-line block ×15, first 2 shown]
	v_accvgpr_read_b32 v141, a177
	v_accvgpr_read_b32 v142, a178
	;; [unrolled: 1-line block ×7, first 2 shown]
	v_pk_mov_b32 v[100:101], v[2:3], v[2:3] op_sel:[0,1]
	v_pk_mov_b32 v[2:3], v[214:215], v[214:215] op_sel:[0,1]
	v_accvgpr_write_b32 a122, v4
	v_pk_mov_b32 v[44:45], v[240:241], v[240:241] op_sel:[0,1]
	v_pk_mov_b32 v[46:47], v[242:243], v[242:243] op_sel:[0,1]
	;; [unrolled: 1-line block ×5, first 2 shown]
	v_accvgpr_write_b32 a158, v84
	v_accvgpr_write_b32 a157, v83
	;; [unrolled: 1-line block ×7, first 2 shown]
	v_accvgpr_mov_b32 a80, a176
	v_accvgpr_mov_b32 a81, a177
	;; [unrolled: 1-line block ×16, first 2 shown]
	v_accvgpr_read_b32 v148, a184
	v_accvgpr_read_b32 v149, a185
	;; [unrolled: 1-line block ×24, first 2 shown]
.LBB18_72:
	s_or_b64 exec, exec, s[4:5]
	v_accvgpr_read_b32 v18, a182
	v_cmp_lt_f64_e32 vcc, v[216:217], v[0:1]
	v_pk_mov_b32 v[4:5], v[216:217], v[216:217] op_sel:[0,1]
	v_accvgpr_read_b32 v19, a183
	s_and_saveexec_b64 s[4:5], vcc
	s_cbranch_execz .LBB18_74
; %bb.73:
	v_mov_b32_e32 v218, v108
	v_mov_b32_e32 v219, v109
	;; [unrolled: 1-line block ×7, first 2 shown]
	v_accvgpr_read_b32 v224, a104
	v_accvgpr_read_b32 v225, a105
	v_accvgpr_read_b32 v226, a182
	v_accvgpr_read_b32 v227, a183
	v_mov_b32_e32 v228, v20
	v_mov_b32_e32 v229, v21
	v_accvgpr_read_b32 v230, a118
	v_accvgpr_read_b32 v231, a119
	;; [unrolled: 1-line block ×4, first 2 shown]
	v_mov_b32_e32 v234, v70
	v_mov_b32_e32 v235, v71
	;; [unrolled: 1-line block ×4, first 2 shown]
	v_pk_mov_b32 v[22:23], v[218:219], v[218:219] op_sel:[0,1]
	v_mov_b32_e32 v11, v109
	v_mov_b32_e32 v12, v110
	;; [unrolled: 1-line block ×5, first 2 shown]
	v_accvgpr_read_b32 v16, a104
	v_accvgpr_read_b32 v17, a105
	;; [unrolled: 1-line block ×4, first 2 shown]
	v_pk_mov_b32 v[24:25], v[220:221], v[220:221] op_sel:[0,1]
	v_pk_mov_b32 v[26:27], v[222:223], v[222:223] op_sel:[0,1]
	;; [unrolled: 1-line block ×9, first 2 shown]
	v_accvgpr_write_b32 a0, v10
	v_accvgpr_write_b32 a106, v108
	;; [unrolled: 1-line block ×3, first 2 shown]
	v_mov_b32_e32 v54, v108
	v_mov_b32_e32 v55, v109
	;; [unrolled: 1-line block ×6, first 2 shown]
	v_accvgpr_read_b32 v60, a104
	v_accvgpr_read_b32 v61, a105
	;; [unrolled: 1-line block ×4, first 2 shown]
	v_mov_b32_e32 v64, v20
	v_mov_b32_e32 v65, v21
	v_accvgpr_read_b32 v66, a118
	v_accvgpr_read_b32 v67, a119
	;; [unrolled: 1-line block ×4, first 2 shown]
	v_accvgpr_write_b32 a159, v85
	v_accvgpr_write_b32 a1, v11
	;; [unrolled: 1-line block ×32, first 2 shown]
	v_accvgpr_read_b32 v18, a104
	s_waitcnt vmcnt(57)
	v_accvgpr_read_b32 v114, a104
	s_waitcnt vmcnt(56)
	v_accvgpr_read_b32 v115, a105
	v_accvgpr_mov_b32 a230, a104
	v_accvgpr_mov_b32 a231, a105
	v_accvgpr_write_b32 a107, v109
	v_accvgpr_write_b32 a108, v110
	;; [unrolled: 1-line block ×5, first 2 shown]
	v_accvgpr_mov_b32 a112, a104
	v_accvgpr_mov_b32 a113, a105
	v_accvgpr_mov_b32 a114, a182
	v_accvgpr_mov_b32 a115, a183
	v_accvgpr_write_b32 a116, v20
	v_accvgpr_write_b32 a117, v21
	;; [unrolled: 1-line block ×7, first 2 shown]
	v_accvgpr_mov_b32 a166, a104
	v_accvgpr_mov_b32 a167, a105
	;; [unrolled: 1-line block ×4, first 2 shown]
	v_accvgpr_write_b32 a170, v20
	v_accvgpr_write_b32 a171, v21
	v_accvgpr_mov_b32 a172, a118
	v_accvgpr_mov_b32 a173, a119
	v_accvgpr_write_b32 a137, v63
	v_accvgpr_write_b32 a136, v62
	;; [unrolled: 1-line block ×10, first 2 shown]
	v_accvgpr_mov_b32 a64, a160
	v_accvgpr_mov_b32 a32, a106
	s_waitcnt vmcnt(32)
	v_pk_mov_b32 v[170:171], v[138:139], v[138:139] op_sel:[0,1]
	v_accvgpr_read_b32 v19, a105
	v_accvgpr_mov_b32 a104, a182
	v_mov_b32_e32 v188, v216
	v_mov_b32_e32 v189, v217
	;; [unrolled: 1-line block ×4, first 2 shown]
	v_accvgpr_write_b32 a224, v108
	v_accvgpr_write_b32 a225, v109
	;; [unrolled: 1-line block ×6, first 2 shown]
	v_accvgpr_mov_b32 a232, a182
	v_accvgpr_mov_b32 a233, a183
	v_pk_mov_b32 v[42:43], v[238:239], v[238:239] op_sel:[0,1]
	v_accvgpr_write_b32 a145, v71
	v_accvgpr_write_b32 a144, v70
	v_accvgpr_write_b32 a143, v69
	v_accvgpr_write_b32 a142, v68
	v_accvgpr_write_b32 a141, v67
	v_accvgpr_write_b32 a140, v66
	v_accvgpr_write_b32 a139, v65
	v_accvgpr_write_b32 a138, v64
	v_accvgpr_mov_b32 a65, a161
	v_accvgpr_mov_b32 a66, a162
	v_accvgpr_mov_b32 a67, a163
	v_accvgpr_mov_b32 a68, a164
	v_accvgpr_mov_b32 a69, a165
	v_accvgpr_mov_b32 a70, a166
	v_accvgpr_mov_b32 a71, a167
	v_accvgpr_mov_b32 a72, a168
	v_accvgpr_mov_b32 a73, a169
	v_accvgpr_mov_b32 a74, a170
	v_accvgpr_mov_b32 a75, a171
	v_accvgpr_mov_b32 a76, a172
	v_accvgpr_mov_b32 a77, a173
	v_accvgpr_mov_b32 a78, a174
	v_accvgpr_mov_b32 a79, a175
	v_accvgpr_mov_b32 a33, a107
	v_accvgpr_mov_b32 a34, a108
	v_accvgpr_mov_b32 a35, a109
	v_accvgpr_mov_b32 a36, a110
	v_accvgpr_mov_b32 a37, a111
	v_accvgpr_mov_b32 a38, a112
	v_accvgpr_mov_b32 a39, a113
	v_accvgpr_mov_b32 a40, a114
	v_accvgpr_mov_b32 a41, a115
	v_accvgpr_mov_b32 a42, a116
	v_accvgpr_mov_b32 a43, a117
	v_accvgpr_mov_b32 a44, a118
	v_accvgpr_mov_b32 a45, a119
	v_pk_mov_b32 v[146:147], v[114:115], v[114:115] op_sel:[0,1]
	v_pk_mov_b32 v[144:145], v[112:113], v[112:113] op_sel:[0,1]
	;; [unrolled: 1-line block ×6, first 2 shown]
	v_accvgpr_mov_b32 a105, a183
	v_pk_mov_b32 v[44:45], v[240:241], v[240:241] op_sel:[0,1]
	v_pk_mov_b32 v[46:47], v[242:243], v[242:243] op_sel:[0,1]
	;; [unrolled: 1-line block ×5, first 2 shown]
	v_accvgpr_write_b32 a158, v84
	v_accvgpr_write_b32 a157, v83
	;; [unrolled: 1-line block ×13, first 2 shown]
	v_accvgpr_mov_b32 a80, a176
	v_accvgpr_mov_b32 a81, a177
	;; [unrolled: 1-line block ×34, first 2 shown]
	v_pk_mov_b32 v[168:169], v[136:137], v[136:137] op_sel:[0,1]
	v_pk_mov_b32 v[166:167], v[134:135], v[134:135] op_sel:[0,1]
	;; [unrolled: 1-line block ×11, first 2 shown]
.LBB18_74:
	s_or_b64 exec, exec, s[4:5]
	v_accvgpr_write_b32 a151, v21
	v_cmp_lt_f64_e32 vcc, v[248:249], v[76:77]
	v_pk_mov_b32 v[246:247], v[248:249], v[248:249] op_sel:[0,1]
	v_accvgpr_write_b32 a150, v20
	s_and_saveexec_b64 s[4:5], vcc
	s_cbranch_execz .LBB18_76
; %bb.75:
	v_accvgpr_read_b32 v54, a224
	v_accvgpr_read_b32 v55, a225
	;; [unrolled: 1-line block ×12, first 2 shown]
	v_mov_b32_e32 v66, v20
	v_mov_b32_e32 v67, v21
	v_accvgpr_read_b32 v68, a174
	v_accvgpr_read_b32 v69, a175
	v_accvgpr_write_b32 a159, v85
	v_accvgpr_write_b32 a151, v77
	;; [unrolled: 1-line block ×3, first 2 shown]
	v_accvgpr_mov_b32 a160, a224
	v_accvgpr_read_b32 v218, a224
	v_accvgpr_read_b32 v219, a225
	v_accvgpr_mov_b32 a151, a119
	v_accvgpr_mov_b32 a234, a118
	v_accvgpr_mov_b32 a235, a119
	v_accvgpr_mov_b32 a42, a118
	v_accvgpr_mov_b32 a43, a119
	v_accvgpr_mov_b32 a161, a225
	v_accvgpr_mov_b32 a162, a226
	v_accvgpr_mov_b32 a163, a227
	v_accvgpr_mov_b32 a164, a228
	v_accvgpr_mov_b32 a165, a229
	v_accvgpr_mov_b32 a166, a230
	v_accvgpr_mov_b32 a167, a231
	v_accvgpr_mov_b32 a168, a232
	v_accvgpr_mov_b32 a169, a233
	v_accvgpr_mov_b32 a170, a118
	v_accvgpr_mov_b32 a171, a119
	v_accvgpr_write_b32 a172, v20
	v_accvgpr_write_b32 a173, v21
	v_accvgpr_read_b32 v220, a226
	v_accvgpr_read_b32 v221, a227
	;; [unrolled: 1-line block ×10, first 2 shown]
	v_mov_b32_e32 v230, v20
	v_mov_b32_e32 v231, v21
	v_accvgpr_read_b32 v232, a174
	v_accvgpr_read_b32 v233, a175
	v_mov_b32_e32 v234, v70
	v_mov_b32_e32 v235, v71
	;; [unrolled: 1-line block ×4, first 2 shown]
	v_pk_mov_b32 v[22:23], v[218:219], v[218:219] op_sel:[0,1]
	v_accvgpr_mov_b32 a64, a160
	v_accvgpr_mov_b32 a0, a224
	;; [unrolled: 1-line block ×3, first 2 shown]
	v_accvgpr_write_b32 a119, v21
	v_mov_b32_e32 v192, v248
	v_mov_b32_e32 v193, v249
	;; [unrolled: 1-line block ×4, first 2 shown]
	v_accvgpr_mov_b32 a32, a224
	v_accvgpr_mov_b32 a33, a225
	;; [unrolled: 1-line block ×10, first 2 shown]
	v_accvgpr_write_b32 a44, v20
	v_accvgpr_write_b32 a45, v21
	v_pk_mov_b32 v[24:25], v[220:221], v[220:221] op_sel:[0,1]
	v_pk_mov_b32 v[26:27], v[222:223], v[222:223] op_sel:[0,1]
	;; [unrolled: 1-line block ×15, first 2 shown]
	v_accvgpr_write_b32 a158, v84
	v_accvgpr_write_b32 a157, v83
	;; [unrolled: 1-line block ×29, first 2 shown]
	v_accvgpr_mov_b32 a65, a161
	v_accvgpr_mov_b32 a66, a162
	;; [unrolled: 1-line block ×26, first 2 shown]
	v_pk_mov_b32 v[246:247], v[76:77], v[76:77] op_sel:[0,1]
	v_pk_mov_b32 v[76:77], v[248:249], v[248:249] op_sel:[0,1]
	v_accvgpr_write_b32 a118, v20
	v_accvgpr_mov_b32 a80, a176
	v_accvgpr_mov_b32 a81, a177
	;; [unrolled: 1-line block ×36, first 2 shown]
.LBB18_76:
	s_or_b64 exec, exec, s[4:5]
	v_accvgpr_read_b32 v239, a175
	v_cmp_lt_f64_e32 vcc, v[174:175], v[180:181]
	v_pk_mov_b32 v[102:103], v[174:175], v[174:175] op_sel:[0,1]
	v_accvgpr_read_b32 v238, a174
	s_and_saveexec_b64 s[4:5], vcc
	s_cbranch_execz .LBB18_78
; %bb.77:
	v_accvgpr_read_b32 v218, a32
	v_accvgpr_read_b32 v219, a33
	;; [unrolled: 1-line block ×14, first 2 shown]
	v_mov_b32_e32 v232, v70
	v_mov_b32_e32 v233, v71
	v_accvgpr_read_b32 v234, a174
	v_accvgpr_read_b32 v235, a175
	v_mov_b32_e32 v238, v74
	v_mov_b32_e32 v239, v75
	v_pk_mov_b32 v[22:23], v[218:219], v[218:219] op_sel:[0,1]
	v_accvgpr_write_b32 a46, v70
	v_accvgpr_write_b32 a47, v71
	;; [unrolled: 1-line block ×4, first 2 shown]
	v_pk_mov_b32 v[24:25], v[220:221], v[220:221] op_sel:[0,1]
	v_pk_mov_b32 v[26:27], v[222:223], v[222:223] op_sel:[0,1]
	;; [unrolled: 1-line block ×15, first 2 shown]
	v_accvgpr_mov_b32 a95, a63
	v_pk_mov_b32 v[238:239], v[70:71], v[70:71] op_sel:[0,1]
	v_accvgpr_read_b32 v70, a174
	v_mov_b32_e32 v196, v174
	v_mov_b32_e32 v197, v175
	;; [unrolled: 1-line block ×4, first 2 shown]
	v_accvgpr_mov_b32 a128, a32
	v_accvgpr_mov_b32 a129, a33
	;; [unrolled: 1-line block ×32, first 2 shown]
	v_pk_mov_b32 v[102:103], v[180:181], v[180:181] op_sel:[0,1]
	v_pk_mov_b32 v[180:181], v[174:175], v[174:175] op_sel:[0,1]
	v_accvgpr_read_b32 v71, a175
	v_accvgpr_mov_b32 a94, a62
	v_accvgpr_mov_b32 a93, a61
	;; [unrolled: 1-line block ×15, first 2 shown]
.LBB18_78:
	s_or_b64 exec, exec, s[4:5]
	v_cmp_lt_f64_e32 vcc, v[172:173], v[242:243]
	v_pk_mov_b32 v[248:249], v[172:173], v[172:173] op_sel:[0,1]
	v_pk_mov_b32 v[72:73], v[236:237], v[236:237] op_sel:[0,1]
	s_and_saveexec_b64 s[4:5], vcc
	s_cbranch_execz .LBB18_80
; %bb.79:
	v_accvgpr_write_b32 a146, v74
	v_accvgpr_write_b32 a147, v75
	v_accvgpr_write_b32 a148, v236
	v_accvgpr_write_b32 a149, v237
	v_accvgpr_read_b32 v22, a128
	v_mov_b32_e32 v200, v172
	v_mov_b32_e32 v201, v173
	v_mov_b32_e32 v202, v242
	v_mov_b32_e32 v203, v243
	v_accvgpr_read_b32 v23, a129
	v_accvgpr_read_b32 v24, a130
	;; [unrolled: 1-line block ×21, first 2 shown]
	v_pk_mov_b32 v[248:249], v[242:243], v[242:243] op_sel:[0,1]
	v_pk_mov_b32 v[242:243], v[172:173], v[172:173] op_sel:[0,1]
	;; [unrolled: 1-line block ×4, first 2 shown]
	v_accvgpr_read_b32 v44, a150
	v_accvgpr_read_b32 v45, a151
	;; [unrolled: 1-line block ×10, first 2 shown]
.LBB18_80:
	s_or_b64 exec, exec, s[4:5]
	v_cmp_lt_f64_e32 vcc, v[2:3], v[80:81]
	v_pk_mov_b32 v[10:11], v[80:81], v[80:81] op_sel:[0,1]
	s_and_saveexec_b64 s[4:5], vcc
	s_cbranch_execz .LBB18_82
; %bb.81:
	v_mov_b32_e32 v54, v6
	v_mov_b32_e32 v55, v7
	;; [unrolled: 1-line block ×10, first 2 shown]
	v_accvgpr_read_b32 v58, a122
	v_accvgpr_read_b32 v59, a123
	v_mov_b32_e32 v60, v18
	v_mov_b32_e32 v61, v19
	v_accvgpr_read_b32 v62, a104
	v_accvgpr_read_b32 v63, a105
	;; [unrolled: 1-line block ×6, first 2 shown]
	v_mov_b32_e32 v68, v238
	v_mov_b32_e32 v69, v239
	v_pk_mov_b32 v[22:23], v[54:55], v[54:55] op_sel:[0,1]
	v_pk_mov_b32 v[36:37], v[68:69], v[68:69] op_sel:[0,1]
	;; [unrolled: 1-line block ×3, first 2 shown]
	v_accvgpr_read_b32 v10, a122
	v_accvgpr_read_b32 v11, a123
	v_mov_b32_e32 v12, v6
	v_mov_b32_e32 v13, v7
	v_mov_b32_e32 v14, v8
	v_mov_b32_e32 v15, v9
	v_accvgpr_read_b32 v16, a122
	v_accvgpr_read_b32 v17, a123
	v_pk_mov_b32 v[24:25], v[56:57], v[56:57] op_sel:[0,1]
	v_pk_mov_b32 v[26:27], v[58:59], v[58:59] op_sel:[0,1]
	;; [unrolled: 1-line block ×9, first 2 shown]
	s_waitcnt vmcnt(32)
	v_pk_mov_b32 v[138:139], v[36:37], v[36:37] op_sel:[0,1]
	v_accvgpr_write_b32 a96, v6
	v_accvgpr_write_b32 a97, v7
	;; [unrolled: 1-line block ×18, first 2 shown]
	v_mov_b32_e32 v224, v6
	v_mov_b32_e32 v225, v7
	;; [unrolled: 1-line block ×6, first 2 shown]
	v_pk_mov_b32 v[168:169], v[40:41], v[40:41] op_sel:[0,1]
	v_pk_mov_b32 v[166:167], v[38:39], v[38:39] op_sel:[0,1]
	;; [unrolled: 1-line block ×30, first 2 shown]
	buffer_store_dword v6, off, s[8:11], 0 offset:128 ; 4-byte Folded Spill
	s_nop 0
	buffer_store_dword v7, off, s[8:11], 0 offset:132 ; 4-byte Folded Spill
	buffer_store_dword v8, off, s[8:11], 0 offset:136 ; 4-byte Folded Spill
	;; [unrolled: 1-line block ×31, first 2 shown]
	buffer_store_dword v6, off, s[8:11], 0  ; 4-byte Folded Spill
	s_nop 0
	buffer_store_dword v7, off, s[8:11], 0 offset:4 ; 4-byte Folded Spill
	buffer_store_dword v8, off, s[8:11], 0 offset:8 ; 4-byte Folded Spill
	;; [unrolled: 1-line block ×31, first 2 shown]
	v_mov_b32_e32 v86, v190
	v_mov_b32_e32 v87, v191
	;; [unrolled: 1-line block ×14, first 2 shown]
	v_accvgpr_mov_b32 a100, a122
	v_accvgpr_mov_b32 a101, a123
	v_accvgpr_mov_b32 a144, a122
	v_accvgpr_mov_b32 a145, a123
	v_accvgpr_mov_b32 a148, a104
	v_accvgpr_mov_b32 a149, a105
	v_accvgpr_mov_b32 a110, a122
	v_accvgpr_mov_b32 a111, a123
	v_accvgpr_mov_b32 a114, a104
	v_accvgpr_mov_b32 a115, a105
	v_accvgpr_mov_b32 a116, a150
	v_accvgpr_mov_b32 a117, a151
	v_accvgpr_read_b32 v228, a122
	v_accvgpr_read_b32 v229, a123
	;; [unrolled: 1-line block ×8, first 2 shown]
	v_accvgpr_write_b32 a64, v224
	v_accvgpr_mov_b32 a32, a106
	v_accvgpr_mov_b32 a0, a140
	;; [unrolled: 1-line block ×3, first 2 shown]
	v_pk_mov_b32 v[212:213], v[108:109], v[108:109] op_sel:[0,1]
	v_accvgpr_write_b32 a65, v225
	v_accvgpr_write_b32 a66, v226
	;; [unrolled: 1-line block ×15, first 2 shown]
	v_accvgpr_mov_b32 a33, a107
	v_accvgpr_mov_b32 a34, a108
	;; [unrolled: 1-line block ×34, first 2 shown]
	v_pk_mov_b32 v[202:203], v[98:99], v[98:99] op_sel:[0,1]
	v_pk_mov_b32 v[200:201], v[96:97], v[96:97] op_sel:[0,1]
	v_pk_mov_b32 v[198:199], v[94:95], v[94:95] op_sel:[0,1]
	v_pk_mov_b32 v[196:197], v[92:93], v[92:93] op_sel:[0,1]
	v_pk_mov_b32 v[194:195], v[90:91], v[90:91] op_sel:[0,1]
	v_pk_mov_b32 v[192:193], v[88:89], v[88:89] op_sel:[0,1]
	v_pk_mov_b32 v[190:191], v[86:87], v[86:87] op_sel:[0,1]
	v_pk_mov_b32 v[188:189], v[84:85], v[84:85] op_sel:[0,1]
	v_pk_mov_b32 v[186:187], v[82:83], v[82:83] op_sel:[0,1]
	v_pk_mov_b32 v[184:185], v[80:81], v[80:81] op_sel:[0,1]
	v_pk_mov_b32 v[182:183], v[78:79], v[78:79] op_sel:[0,1]
	v_pk_mov_b32 v[10:11], v[2:3], v[2:3] op_sel:[0,1]
	v_pk_mov_b32 v[2:3], v[80:81], v[80:81] op_sel:[0,1]
	v_pk_mov_b32 v[6:7], v[8:9], v[8:9] op_sel:[0,1]
	v_pk_mov_b32 v[44:45], v[76:77], v[76:77] op_sel:[0,1]
	v_pk_mov_b32 v[46:47], v[78:79], v[78:79] op_sel:[0,1]
	v_pk_mov_b32 v[48:49], v[80:81], v[80:81] op_sel:[0,1]
	v_pk_mov_b32 v[50:51], v[82:83], v[82:83] op_sel:[0,1]
	v_pk_mov_b32 v[52:53], v[84:85], v[84:85] op_sel:[0,1]
	v_accvgpr_write_b32 a80, v240
	v_accvgpr_write_b32 a81, v241
	;; [unrolled: 1-line block ×16, first 2 shown]
	v_accvgpr_mov_b32 a46, a120
	v_accvgpr_mov_b32 a47, a121
	;; [unrolled: 1-line block ×59, first 2 shown]
	v_pk_mov_b32 v[210:211], v[106:107], v[106:107] op_sel:[0,1]
	v_pk_mov_b32 v[208:209], v[104:105], v[104:105] op_sel:[0,1]
	v_pk_mov_b32 v[206:207], v[102:103], v[102:103] op_sel:[0,1]
	v_pk_mov_b32 v[204:205], v[100:101], v[100:101] op_sel:[0,1]
.LBB18_82:
	s_or_b64 exec, exec, s[4:5]
	buffer_load_dword v148, off, s[8:11], 0 ; 4-byte Folded Reload
	buffer_load_dword v149, off, s[8:11], 0 offset:4 ; 4-byte Folded Reload
	buffer_load_dword v150, off, s[8:11], 0 offset:8 ; 4-byte Folded Reload
	;; [unrolled: 1-line block ×31, first 2 shown]
	s_waitcnt vmcnt(28)
	v_accvgpr_read_b32 v151, a123
	v_cmp_lt_f64_e32 vcc, v[0:1], v[100:101]
	v_pk_mov_b32 v[8:9], v[0:1], v[0:1] op_sel:[0,1]
	v_accvgpr_read_b32 v150, a122
	s_waitcnt vmcnt(0)
	buffer_store_dword v148, off, s[8:11], 0 ; 4-byte Folded Spill
	s_nop 0
	buffer_store_dword v149, off, s[8:11], 0 offset:4 ; 4-byte Folded Spill
	buffer_store_dword v150, off, s[8:11], 0 offset:8 ; 4-byte Folded Spill
	buffer_store_dword v151, off, s[8:11], 0 offset:12 ; 4-byte Folded Spill
	buffer_store_dword v152, off, s[8:11], 0 offset:16 ; 4-byte Folded Spill
	buffer_store_dword v153, off, s[8:11], 0 offset:20 ; 4-byte Folded Spill
	buffer_store_dword v154, off, s[8:11], 0 offset:24 ; 4-byte Folded Spill
	buffer_store_dword v155, off, s[8:11], 0 offset:28 ; 4-byte Folded Spill
	buffer_store_dword v156, off, s[8:11], 0 offset:32 ; 4-byte Folded Spill
	buffer_store_dword v157, off, s[8:11], 0 offset:36 ; 4-byte Folded Spill
	buffer_store_dword v158, off, s[8:11], 0 offset:40 ; 4-byte Folded Spill
	buffer_store_dword v159, off, s[8:11], 0 offset:44 ; 4-byte Folded Spill
	buffer_store_dword v160, off, s[8:11], 0 offset:48 ; 4-byte Folded Spill
	buffer_store_dword v161, off, s[8:11], 0 offset:52 ; 4-byte Folded Spill
	buffer_store_dword v162, off, s[8:11], 0 offset:56 ; 4-byte Folded Spill
	buffer_store_dword v163, off, s[8:11], 0 offset:60 ; 4-byte Folded Spill
	buffer_store_dword v164, off, s[8:11], 0 offset:64 ; 4-byte Folded Spill
	buffer_store_dword v165, off, s[8:11], 0 offset:68 ; 4-byte Folded Spill
	buffer_store_dword v166, off, s[8:11], 0 offset:72 ; 4-byte Folded Spill
	buffer_store_dword v167, off, s[8:11], 0 offset:76 ; 4-byte Folded Spill
	buffer_store_dword v168, off, s[8:11], 0 offset:80 ; 4-byte Folded Spill
	buffer_store_dword v169, off, s[8:11], 0 offset:84 ; 4-byte Folded Spill
	buffer_store_dword v170, off, s[8:11], 0 offset:88 ; 4-byte Folded Spill
	buffer_store_dword v171, off, s[8:11], 0 offset:92 ; 4-byte Folded Spill
	buffer_store_dword v172, off, s[8:11], 0 offset:96 ; 4-byte Folded Spill
	buffer_store_dword v173, off, s[8:11], 0 offset:100 ; 4-byte Folded Spill
	buffer_store_dword v174, off, s[8:11], 0 offset:104 ; 4-byte Folded Spill
	buffer_store_dword v175, off, s[8:11], 0 offset:108 ; 4-byte Folded Spill
	buffer_store_dword v176, off, s[8:11], 0 offset:112 ; 4-byte Folded Spill
	buffer_store_dword v177, off, s[8:11], 0 offset:116 ; 4-byte Folded Spill
	buffer_store_dword v178, off, s[8:11], 0 offset:120 ; 4-byte Folded Spill
	buffer_store_dword v179, off, s[8:11], 0 offset:124 ; 4-byte Folded Spill
	s_and_saveexec_b64 s[4:5], vcc
	s_cbranch_execz .LBB18_84
; %bb.83:
	buffer_load_dword v108, off, s[8:11], 0 offset:128 ; 4-byte Folded Reload
	buffer_load_dword v109, off, s[8:11], 0 offset:132 ; 4-byte Folded Reload
	buffer_load_dword v110, off, s[8:11], 0 offset:136 ; 4-byte Folded Reload
	buffer_load_dword v111, off, s[8:11], 0 offset:140 ; 4-byte Folded Reload
	buffer_load_dword v112, off, s[8:11], 0 offset:144 ; 4-byte Folded Reload
	buffer_load_dword v113, off, s[8:11], 0 offset:148 ; 4-byte Folded Reload
	buffer_load_dword v114, off, s[8:11], 0 offset:152 ; 4-byte Folded Reload
	buffer_load_dword v115, off, s[8:11], 0 offset:156 ; 4-byte Folded Reload
	buffer_load_dword v116, off, s[8:11], 0 offset:160 ; 4-byte Folded Reload
	buffer_load_dword v117, off, s[8:11], 0 offset:164 ; 4-byte Folded Reload
	buffer_load_dword v118, off, s[8:11], 0 offset:168 ; 4-byte Folded Reload
	buffer_load_dword v119, off, s[8:11], 0 offset:172 ; 4-byte Folded Reload
	buffer_load_dword v120, off, s[8:11], 0 offset:176 ; 4-byte Folded Reload
	buffer_load_dword v121, off, s[8:11], 0 offset:180 ; 4-byte Folded Reload
	buffer_load_dword v122, off, s[8:11], 0 offset:184 ; 4-byte Folded Reload
	buffer_load_dword v123, off, s[8:11], 0 offset:188 ; 4-byte Folded Reload
	buffer_load_dword v124, off, s[8:11], 0 offset:192 ; 4-byte Folded Reload
	buffer_load_dword v125, off, s[8:11], 0 offset:196 ; 4-byte Folded Reload
	buffer_load_dword v126, off, s[8:11], 0 offset:200 ; 4-byte Folded Reload
	buffer_load_dword v127, off, s[8:11], 0 offset:204 ; 4-byte Folded Reload
	buffer_load_dword v128, off, s[8:11], 0 offset:208 ; 4-byte Folded Reload
	buffer_load_dword v129, off, s[8:11], 0 offset:212 ; 4-byte Folded Reload
	buffer_load_dword v130, off, s[8:11], 0 offset:216 ; 4-byte Folded Reload
	buffer_load_dword v131, off, s[8:11], 0 offset:220 ; 4-byte Folded Reload
	buffer_load_dword v132, off, s[8:11], 0 offset:224 ; 4-byte Folded Reload
	buffer_load_dword v133, off, s[8:11], 0 offset:228 ; 4-byte Folded Reload
	buffer_load_dword v134, off, s[8:11], 0 offset:232 ; 4-byte Folded Reload
	buffer_load_dword v135, off, s[8:11], 0 offset:236 ; 4-byte Folded Reload
	buffer_load_dword v136, off, s[8:11], 0 offset:240 ; 4-byte Folded Reload
	buffer_load_dword v137, off, s[8:11], 0 offset:244 ; 4-byte Folded Reload
	buffer_load_dword v138, off, s[8:11], 0 offset:248 ; 4-byte Folded Reload
	buffer_load_dword v139, off, s[8:11], 0 offset:252 ; 4-byte Folded Reload
	buffer_load_dword v148, off, s[8:11], 0 ; 4-byte Folded Reload
	buffer_load_dword v149, off, s[8:11], 0 offset:4 ; 4-byte Folded Reload
	buffer_load_dword v150, off, s[8:11], 0 offset:8 ; 4-byte Folded Reload
	;; [unrolled: 1-line block ×31, first 2 shown]
	s_waitcnt vmcnt(59)
	v_mov_b32_e32 v112, v18
	s_waitcnt vmcnt(58)
	v_mov_b32_e32 v113, v19
	v_mov_b32_e32 v144, v18
	;; [unrolled: 1-line block ×3, first 2 shown]
	v_accvgpr_write_b32 a100, v18
	v_accvgpr_write_b32 a101, v19
	v_accvgpr_mov_b32 a102, a122
	v_accvgpr_mov_b32 a103, a123
	v_accvgpr_write_b32 a144, v18
	v_accvgpr_write_b32 a145, v19
	v_accvgpr_mov_b32 a146, a122
	v_accvgpr_mov_b32 a147, a123
	;; [unrolled: 1-line block ×4, first 2 shown]
	v_accvgpr_write_b32 a110, v18
	v_accvgpr_write_b32 a111, v19
	v_accvgpr_mov_b32 a112, a122
	v_accvgpr_mov_b32 a113, a123
	;; [unrolled: 1-line block ×6, first 2 shown]
	v_mov_b32_e32 v228, v18
	v_mov_b32_e32 v229, v19
	v_accvgpr_read_b32 v230, a122
	v_accvgpr_read_b32 v231, a123
	;; [unrolled: 1-line block ×8, first 2 shown]
	v_mov_b32_e32 v58, v18
	v_mov_b32_e32 v59, v19
	v_accvgpr_read_b32 v60, a122
	v_accvgpr_read_b32 v61, a123
	;; [unrolled: 1-line block ×8, first 2 shown]
	v_mov_b32_e32 v68, v238
	v_mov_b32_e32 v69, v239
	s_waitcnt vmcnt(28)
	v_pk_mov_b32 v[150:151], v[18:19], v[18:19] op_sel:[0,1]
	v_accvgpr_read_b32 v18, a122
	v_mov_b32_e32 v186, v0
	v_mov_b32_e32 v187, v1
	;; [unrolled: 1-line block ×4, first 2 shown]
	v_accvgpr_read_b32 v146, a122
	v_accvgpr_read_b32 v147, a123
	v_pk_mov_b32 v[8:9], v[100:101], v[100:101] op_sel:[0,1]
	v_pk_mov_b32 v[100:101], v[0:1], v[0:1] op_sel:[0,1]
	v_accvgpr_read_b32 v19, a123
	s_waitcnt vmcnt(0)
	buffer_store_dword v148, off, s[8:11], 0 ; 4-byte Folded Spill
	s_nop 0
	buffer_store_dword v149, off, s[8:11], 0 offset:4 ; 4-byte Folded Spill
	buffer_store_dword v150, off, s[8:11], 0 offset:8 ; 4-byte Folded Spill
	;; [unrolled: 1-line block ×31, first 2 shown]
	v_accvgpr_write_b32 a140, v108
	v_accvgpr_write_b32 a106, v108
	v_mov_b32_e32 v224, v108
	v_mov_b32_e32 v54, v108
	;; [unrolled: 1-line block ×3, first 2 shown]
	v_accvgpr_write_b32 a96, v108
	v_accvgpr_write_b32 a97, v109
	;; [unrolled: 1-line block ×10, first 2 shown]
	v_mov_b32_e32 v225, v109
	v_mov_b32_e32 v226, v110
	;; [unrolled: 1-line block ×5, first 2 shown]
	v_pk_mov_b32 v[22:23], v[54:55], v[54:55] op_sel:[0,1]
	v_accvgpr_write_b32 a64, v224
	v_accvgpr_mov_b32 a32, a106
	v_accvgpr_mov_b32 a0, a140
	v_accvgpr_mov_b32 a255, a127
	v_mov_b32_e32 v140, v108
	v_mov_b32_e32 v141, v109
	;; [unrolled: 1-line block ×4, first 2 shown]
	v_pk_mov_b32 v[24:25], v[56:57], v[56:57] op_sel:[0,1]
	v_pk_mov_b32 v[26:27], v[58:59], v[58:59] op_sel:[0,1]
	;; [unrolled: 1-line block ×10, first 2 shown]
	v_accvgpr_write_b32 a65, v225
	v_accvgpr_write_b32 a66, v226
	;; [unrolled: 1-line block ×15, first 2 shown]
	v_accvgpr_mov_b32 a33, a107
	v_accvgpr_mov_b32 a34, a108
	;; [unrolled: 1-line block ×34, first 2 shown]
	v_pk_mov_b32 v[44:45], v[76:77], v[76:77] op_sel:[0,1]
	v_pk_mov_b32 v[46:47], v[78:79], v[78:79] op_sel:[0,1]
	;; [unrolled: 1-line block ×5, first 2 shown]
	v_accvgpr_write_b32 a80, v240
	v_accvgpr_write_b32 a81, v241
	;; [unrolled: 1-line block ×16, first 2 shown]
	v_accvgpr_mov_b32 a46, a120
	v_accvgpr_mov_b32 a47, a121
	;; [unrolled: 1-line block ×59, first 2 shown]
.LBB18_84:
	s_or_b64 exec, exec, s[4:5]
	v_accvgpr_read_b32 v20, a104
	v_cmp_lt_f64_e32 vcc, v[76:77], v[4:5]
	v_pk_mov_b32 v[0:1], v[76:77], v[76:77] op_sel:[0,1]
	v_accvgpr_read_b32 v21, a105
	s_and_saveexec_b64 s[4:5], vcc
	s_cbranch_execz .LBB18_86
; %bb.85:
	v_accvgpr_write_b32 a106, v140
	v_mov_b32_e32 v224, v140
	v_mov_b32_e32 v54, v140
	;; [unrolled: 1-line block ×3, first 2 shown]
	v_accvgpr_read_b32 v20, a150
	v_accvgpr_read_b32 v148, a150
	;; [unrolled: 1-line block ×3, first 2 shown]
	v_accvgpr_mov_b32 a8, a150
	v_accvgpr_mov_b32 a9, a151
	v_accvgpr_write_b32 a107, v141
	v_accvgpr_write_b32 a108, v142
	;; [unrolled: 1-line block ×7, first 2 shown]
	v_accvgpr_mov_b32 a114, a150
	v_accvgpr_mov_b32 a115, a151
	;; [unrolled: 1-line block ×4, first 2 shown]
	v_mov_b32_e32 v225, v141
	v_mov_b32_e32 v226, v142
	v_mov_b32_e32 v227, v143
	v_mov_b32_e32 v228, v144
	v_mov_b32_e32 v229, v145
	v_mov_b32_e32 v230, v146
	v_mov_b32_e32 v231, v147
	v_accvgpr_read_b32 v232, a150
	v_accvgpr_read_b32 v233, a151
	;; [unrolled: 1-line block ×6, first 2 shown]
	v_mov_b32_e32 v56, v142
	v_mov_b32_e32 v57, v143
	;; [unrolled: 1-line block ×6, first 2 shown]
	v_accvgpr_read_b32 v62, a150
	v_accvgpr_read_b32 v63, a151
	;; [unrolled: 1-line block ×6, first 2 shown]
	v_mov_b32_e32 v68, v238
	v_mov_b32_e32 v69, v239
	v_pk_mov_b32 v[22:23], v[54:55], v[54:55] op_sel:[0,1]
	v_accvgpr_write_b32 a64, v224
	v_accvgpr_mov_b32 a32, a106
	v_accvgpr_write_b32 a255, v171
	v_accvgpr_read_b32 v21, a151
	v_accvgpr_mov_b32 a151, a105
	v_mov_b32_e32 v190, v76
	v_mov_b32_e32 v191, v77
	v_mov_b32_e32 v192, v4
	v_mov_b32_e32 v193, v5
	v_accvgpr_write_b32 a0, v140
	v_accvgpr_write_b32 a1, v141
	;; [unrolled: 1-line block ×8, first 2 shown]
	v_accvgpr_mov_b32 a10, a104
	v_accvgpr_mov_b32 a11, a105
	v_pk_mov_b32 v[24:25], v[56:57], v[56:57] op_sel:[0,1]
	v_pk_mov_b32 v[26:27], v[58:59], v[58:59] op_sel:[0,1]
	;; [unrolled: 1-line block ×10, first 2 shown]
	v_accvgpr_write_b32 a65, v225
	v_accvgpr_write_b32 a66, v226
	;; [unrolled: 1-line block ×15, first 2 shown]
	v_accvgpr_mov_b32 a33, a107
	v_accvgpr_mov_b32 a34, a108
	;; [unrolled: 1-line block ×13, first 2 shown]
	v_accvgpr_write_b32 a233, v149
	v_accvgpr_write_b32 a232, v148
	v_accvgpr_write_b32 a231, v147
	v_accvgpr_write_b32 a230, v146
	v_accvgpr_write_b32 a229, v145
	v_accvgpr_write_b32 a228, v144
	v_accvgpr_write_b32 a227, v143
	v_accvgpr_write_b32 a226, v142
	v_accvgpr_write_b32 a225, v141
	v_accvgpr_write_b32 a224, v140
	v_pk_mov_b32 v[0:1], v[4:5], v[4:5] op_sel:[0,1]
	v_pk_mov_b32 v[4:5], v[76:77], v[76:77] op_sel:[0,1]
	v_accvgpr_mov_b32 a150, a104
	v_pk_mov_b32 v[44:45], v[76:77], v[76:77] op_sel:[0,1]
	v_pk_mov_b32 v[46:47], v[78:79], v[78:79] op_sel:[0,1]
	;; [unrolled: 1-line block ×5, first 2 shown]
	v_accvgpr_write_b32 a80, v240
	v_accvgpr_write_b32 a81, v241
	v_accvgpr_write_b32 a82, v242
	v_accvgpr_write_b32 a83, v243
	v_accvgpr_write_b32 a84, v244
	v_accvgpr_write_b32 a85, v245
	v_accvgpr_write_b32 a86, v246
	v_accvgpr_write_b32 a87, v247
	v_accvgpr_write_b32 a88, v248
	v_accvgpr_write_b32 a89, v249
	v_accvgpr_write_b32 a90, v250
	v_accvgpr_write_b32 a91, v251
	v_accvgpr_write_b32 a92, v252
	v_accvgpr_write_b32 a93, v253
	v_accvgpr_write_b32 a94, v254
	v_accvgpr_write_b32 a95, v255
	v_accvgpr_mov_b32 a46, a120
	v_accvgpr_mov_b32 a47, a121
	v_accvgpr_mov_b32 a48, a122
	v_accvgpr_mov_b32 a49, a123
	v_accvgpr_mov_b32 a50, a124
	v_accvgpr_mov_b32 a51, a125
	v_accvgpr_mov_b32 a52, a126
	v_accvgpr_mov_b32 a53, a127
	v_accvgpr_mov_b32 a54, a128
	v_accvgpr_mov_b32 a55, a129
	v_accvgpr_mov_b32 a56, a130
	v_accvgpr_mov_b32 a57, a131
	v_accvgpr_mov_b32 a58, a132
	v_accvgpr_mov_b32 a59, a133
	v_accvgpr_mov_b32 a60, a134
	v_accvgpr_mov_b32 a61, a135
	v_accvgpr_mov_b32 a62, a136
	v_accvgpr_mov_b32 a63, a137
	v_accvgpr_write_b32 a254, v170
	v_accvgpr_write_b32 a253, v169
	;; [unrolled: 1-line block ×21, first 2 shown]
.LBB18_86:
	s_or_b64 exec, exec, s[4:5]
	v_accvgpr_mov_b32 a153, a119
	v_cmp_lt_f64_e32 vcc, v[180:181], v[246:247]
	v_pk_mov_b32 v[54:55], v[180:181], v[180:181] op_sel:[0,1]
	v_accvgpr_mov_b32 a152, a118
	s_and_saveexec_b64 s[4:5], vcc
	s_cbranch_execz .LBB18_88
; %bb.87:
	v_accvgpr_read_b32 v54, a0
	v_accvgpr_read_b32 v55, a1
	v_accvgpr_write_b32 a152, v238
	v_accvgpr_write_b32 a12, v238
	;; [unrolled: 1-line block ×5, first 2 shown]
	v_accvgpr_read_b32 v56, a2
	v_accvgpr_read_b32 v57, a3
	;; [unrolled: 1-line block ×10, first 2 shown]
	v_mov_b32_e32 v66, v238
	v_mov_b32_e32 v67, v239
	v_accvgpr_read_b32 v68, a118
	v_accvgpr_read_b32 v69, a119
	v_pk_mov_b32 v[22:23], v[54:55], v[54:55] op_sel:[0,1]
	v_accvgpr_mov_b32 a63, a31
	v_accvgpr_write_b32 a153, v239
	v_accvgpr_read_b32 v239, a119
	v_mov_b32_e32 v194, v180
	v_mov_b32_e32 v195, v181
	;; [unrolled: 1-line block ×4, first 2 shown]
	v_accvgpr_mov_b32 a64, a0
	v_accvgpr_mov_b32 a65, a1
	;; [unrolled: 1-line block ×14, first 2 shown]
	v_pk_mov_b32 v[24:25], v[56:57], v[56:57] op_sel:[0,1]
	v_pk_mov_b32 v[26:27], v[58:59], v[58:59] op_sel:[0,1]
	;; [unrolled: 1-line block ×15, first 2 shown]
	v_accvgpr_mov_b32 a45, a13
	v_accvgpr_mov_b32 a44, a12
	;; [unrolled: 1-line block ×14, first 2 shown]
	v_pk_mov_b32 v[54:55], v[246:247], v[246:247] op_sel:[0,1]
	v_pk_mov_b32 v[246:247], v[180:181], v[180:181] op_sel:[0,1]
	v_accvgpr_read_b32 v238, a118
	v_accvgpr_mov_b32 a62, a30
	v_accvgpr_mov_b32 a61, a29
	;; [unrolled: 1-line block ×17, first 2 shown]
.LBB18_88:
	s_or_b64 exec, exec, s[4:5]
	v_cmp_lt_f64_e32 vcc, v[242:243], v[102:103]
	v_pk_mov_b32 v[56:57], v[242:243], v[242:243] op_sel:[0,1]
	v_pk_mov_b32 v[240:241], v[70:71], v[70:71] op_sel:[0,1]
	s_and_saveexec_b64 s[4:5], vcc
	s_cbranch_execz .LBB18_90
; %bb.89:
	v_accvgpr_write_b32 a80, v72
	v_accvgpr_write_b32 a81, v73
	;; [unrolled: 1-line block ×6, first 2 shown]
	v_accvgpr_read_b32 v22, a64
	v_mov_b32_e32 v198, v242
	v_mov_b32_e32 v199, v243
	;; [unrolled: 1-line block ×4, first 2 shown]
	v_accvgpr_read_b32 v23, a65
	v_accvgpr_read_b32 v24, a66
	;; [unrolled: 1-line block ×21, first 2 shown]
	v_pk_mov_b32 v[56:57], v[102:103], v[102:103] op_sel:[0,1]
	v_pk_mov_b32 v[102:103], v[242:243], v[242:243] op_sel:[0,1]
	;; [unrolled: 1-line block ×4, first 2 shown]
	v_accvgpr_read_b32 v44, a86
	v_accvgpr_read_b32 v45, a87
	;; [unrolled: 1-line block ×10, first 2 shown]
.LBB18_90:
	s_or_b64 exec, exec, s[4:5]
	v_cmp_lt_f64_e32 vcc, v[100:101], v[2:3]
	v_pk_mov_b32 v[12:13], v[100:101], v[100:101] op_sel:[0,1]
	s_and_saveexec_b64 s[4:5], vcc
	s_cbranch_execz .LBB18_92
; %bb.91:
	buffer_load_dword v108, off, s[8:11], 0 ; 4-byte Folded Reload
	buffer_load_dword v109, off, s[8:11], 0 offset:4 ; 4-byte Folded Reload
	buffer_load_dword v110, off, s[8:11], 0 offset:8 ; 4-byte Folded Reload
	;; [unrolled: 1-line block ×31, first 2 shown]
	v_mov_b32_e32 v228, v6
	v_mov_b32_e32 v229, v7
	;; [unrolled: 1-line block ×6, first 2 shown]
	v_accvgpr_read_b32 v234, a150
	v_accvgpr_read_b32 v235, a151
	;; [unrolled: 1-line block ×4, first 2 shown]
	v_mov_b32_e32 v242, v72
	v_mov_b32_e32 v243, v73
	;; [unrolled: 1-line block ×6, first 2 shown]
	v_accvgpr_write_b32 a144, v6
	v_accvgpr_write_b32 a145, v7
	;; [unrolled: 1-line block ×6, first 2 shown]
	v_mov_b32_e32 v184, v100
	v_mov_b32_e32 v185, v101
	;; [unrolled: 1-line block ×4, first 2 shown]
	s_waitcnt vmcnt(27)
	v_mov_b32_e32 v112, v6
	s_waitcnt vmcnt(26)
	v_mov_b32_e32 v113, v7
	v_mov_b32_e32 v224, v108
	;; [unrolled: 1-line block ×5, first 2 shown]
	v_pk_mov_b32 v[22:23], v[224:225], v[224:225] op_sel:[0,1]
	v_accvgpr_write_b32 a140, v108
	v_pk_mov_b32 v[42:43], v[244:245], v[244:245] op_sel:[0,1]
	v_mov_b32_e32 v12, v108
	v_mov_b32_e32 v13, v109
	;; [unrolled: 1-line block ×4, first 2 shown]
	v_accvgpr_write_b32 a141, v109
	v_accvgpr_write_b32 a142, v110
	;; [unrolled: 1-line block ×3, first 2 shown]
	v_pk_mov_b32 v[24:25], v[226:227], v[226:227] op_sel:[0,1]
	v_pk_mov_b32 v[26:27], v[228:229], v[228:229] op_sel:[0,1]
	;; [unrolled: 1-line block ×9, first 2 shown]
	v_accvgpr_mov_b32 a32, a140
	v_accvgpr_write_b32 a255, v43
	v_accvgpr_mov_b32 a33, a141
	v_accvgpr_mov_b32 a34, a142
	;; [unrolled: 1-line block ×13, first 2 shown]
	v_accvgpr_write_b32 a254, v42
	v_accvgpr_write_b32 a253, v41
	;; [unrolled: 1-line block ×31, first 2 shown]
	v_pk_mov_b32 v[12:13], v[2:3], v[2:3] op_sel:[0,1]
	v_pk_mov_b32 v[2:3], v[100:101], v[100:101] op_sel:[0,1]
	;; [unrolled: 1-line block ×7, first 2 shown]
	v_accvgpr_mov_b32 a46, a154
	v_accvgpr_mov_b32 a47, a155
	;; [unrolled: 1-line block ×18, first 2 shown]
.LBB18_92:
	s_or_b64 exec, exec, s[4:5]
	v_mov_b32_e32 v7, s1
	v_mov_b32_e32 v16, s3
	v_cmp_lt_f64_e32 vcc, v[4:5], v[8:9]
	v_pk_mov_b32 v[14:15], v[4:5], v[4:5] op_sel:[0,1]
	s_and_saveexec_b64 s[4:5], vcc
	s_cbranch_execz .LBB18_94
; %bb.93:
	v_accvgpr_write_b32 a140, v108
	v_mov_b32_e32 v224, v108
	v_mov_b32_e32 v225, v109
	s_waitcnt vmcnt(25)
	v_mov_b32_e32 v114, v20
	s_waitcnt vmcnt(24)
	v_mov_b32_e32 v115, v21
	s_waitcnt vmcnt(23)
	v_mov_b32_e32 v116, v18
	s_waitcnt vmcnt(22)
	v_mov_b32_e32 v117, v19
	v_accvgpr_write_b32 a141, v109
	v_accvgpr_write_b32 a142, v110
	;; [unrolled: 1-line block ×9, first 2 shown]
	v_mov_b32_e32 v226, v110
	v_mov_b32_e32 v227, v111
	;; [unrolled: 1-line block ×8, first 2 shown]
	v_accvgpr_read_b32 v234, a150
	v_accvgpr_read_b32 v235, a151
	;; [unrolled: 1-line block ×4, first 2 shown]
	v_mov_b32_e32 v242, v72
	v_mov_b32_e32 v243, v73
	;; [unrolled: 1-line block ×4, first 2 shown]
	v_pk_mov_b32 v[22:23], v[224:225], v[224:225] op_sel:[0,1]
	v_accvgpr_mov_b32 a32, a140
	s_waitcnt vmcnt(0)
	v_accvgpr_write_b32 a255, v139
	v_mov_b32_e32 v188, v4
	v_mov_b32_e32 v189, v5
	;; [unrolled: 1-line block ×4, first 2 shown]
	v_pk_mov_b32 v[24:25], v[226:227], v[226:227] op_sel:[0,1]
	v_pk_mov_b32 v[26:27], v[228:229], v[228:229] op_sel:[0,1]
	;; [unrolled: 1-line block ×10, first 2 shown]
	v_accvgpr_mov_b32 a33, a141
	v_accvgpr_mov_b32 a34, a142
	;; [unrolled: 1-line block ×13, first 2 shown]
	v_accvgpr_write_b32 a233, v117
	v_accvgpr_write_b32 a232, v116
	;; [unrolled: 1-line block ×10, first 2 shown]
	v_pk_mov_b32 v[14:15], v[8:9], v[8:9] op_sel:[0,1]
	v_pk_mov_b32 v[8:9], v[4:5], v[4:5] op_sel:[0,1]
	;; [unrolled: 1-line block ×7, first 2 shown]
	v_accvgpr_mov_b32 a46, a154
	v_accvgpr_mov_b32 a47, a155
	;; [unrolled: 1-line block ×18, first 2 shown]
	v_accvgpr_write_b32 a254, v138
	v_accvgpr_write_b32 a253, v137
	;; [unrolled: 1-line block ×21, first 2 shown]
.LBB18_94:
	s_or_b64 exec, exec, s[4:5]
	v_add_co_u32_e32 v6, vcc, s0, v250
	v_addc_co_u32_e32 v7, vcc, 0, v7, vcc
	v_add_co_u32_e32 v4, vcc, s2, v250
	v_addc_co_u32_e32 v5, vcc, 0, v16, vcc
	v_cmp_lt_f64_e32 vcc, v[246:247], v[0:1]
	v_pk_mov_b32 v[16:17], v[246:247], v[246:247] op_sel:[0,1]
	s_and_saveexec_b64 s[0:1], vcc
	s_cbranch_execz .LBB18_96
; %bb.95:
	v_accvgpr_read_b32 v224, a224
	v_accvgpr_read_b32 v225, a225
	v_accvgpr_mov_b32 a234, a152
	v_accvgpr_mov_b32 a235, a153
	v_accvgpr_mov_b32 a236, a150
	v_accvgpr_mov_b32 a237, a151
	v_accvgpr_read_b32 v226, a226
	v_accvgpr_read_b32 v227, a227
	;; [unrolled: 1-line block ×12, first 2 shown]
	v_mov_b32_e32 v242, v72
	v_mov_b32_e32 v243, v73
	;; [unrolled: 1-line block ×4, first 2 shown]
	v_pk_mov_b32 v[22:23], v[224:225], v[224:225] op_sel:[0,1]
	v_accvgpr_mov_b32 a32, a224
	v_mov_b32_e32 v192, v246
	v_mov_b32_e32 v193, v247
	;; [unrolled: 1-line block ×4, first 2 shown]
	v_pk_mov_b32 v[24:25], v[226:227], v[226:227] op_sel:[0,1]
	v_pk_mov_b32 v[26:27], v[228:229], v[228:229] op_sel:[0,1]
	;; [unrolled: 1-line block ×10, first 2 shown]
	v_accvgpr_mov_b32 a33, a225
	v_accvgpr_mov_b32 a34, a226
	;; [unrolled: 1-line block ×13, first 2 shown]
	v_pk_mov_b32 v[16:17], v[0:1], v[0:1] op_sel:[0,1]
	v_pk_mov_b32 v[0:1], v[246:247], v[246:247] op_sel:[0,1]
	;; [unrolled: 1-line block ×7, first 2 shown]
	v_accvgpr_mov_b32 a46, a238
	v_accvgpr_mov_b32 a47, a239
	;; [unrolled: 1-line block ×18, first 2 shown]
.LBB18_96:
	s_or_b64 exec, exec, s[0:1]
	v_cmp_lt_f64_e32 vcc, v[102:103], v[54:55]
	v_pk_mov_b32 v[18:19], v[102:103], v[102:103] op_sel:[0,1]
	s_and_saveexec_b64 s[0:1], vcc
	s_cbranch_execz .LBB18_98
; %bb.97:
	v_accvgpr_write_b32 a46, v240
	v_accvgpr_write_b32 a47, v241
	;; [unrolled: 1-line block ×8, first 2 shown]
	v_accvgpr_read_b32 v22, a32
	v_mov_b32_e32 v196, v102
	v_mov_b32_e32 v197, v103
	;; [unrolled: 1-line block ×4, first 2 shown]
	v_accvgpr_read_b32 v23, a33
	v_accvgpr_read_b32 v24, a34
	;; [unrolled: 1-line block ×21, first 2 shown]
	v_pk_mov_b32 v[18:19], v[54:55], v[54:55] op_sel:[0,1]
	v_pk_mov_b32 v[54:55], v[102:103], v[102:103] op_sel:[0,1]
	v_accvgpr_read_b32 v44, a54
	v_accvgpr_read_b32 v45, a55
	;; [unrolled: 1-line block ×10, first 2 shown]
.LBB18_98:
	s_or_b64 exec, exec, s[0:1]
	v_cmp_lt_f64_e32 vcc, v[248:249], v[56:57]
	v_cndmask_b32_e32 v49, v203, v57, vcc
	v_cndmask_b32_e32 v48, v202, v56, vcc
	;; [unrolled: 1-line block ×10, first 2 shown]
	v_cmp_lt_f64_e32 vcc, v[2:3], v[10:11]
	v_cndmask_b32_e32 v43, v185, v11, vcc
	v_cndmask_b32_e32 v42, v184, v10, vcc
	v_cndmask_b32_e32 v41, v183, v3, vcc
	v_cndmask_b32_e32 v40, v182, v2, vcc
	v_cndmask_b32_e32 v47, v25, v23, vcc
	v_cndmask_b32_e32 v46, v24, v22, vcc
	v_cndmask_b32_e32 v45, v23, v25, vcc
	v_cndmask_b32_e32 v44, v22, v24, vcc
	v_cmp_lt_f64_e32 vcc, v[8:9], v[12:13]
	v_cndmask_b32_e32 v11, v189, v13, vcc
	v_cndmask_b32_e32 v10, v188, v12, vcc
	v_cndmask_b32_e32 v9, v187, v9, vcc
	v_cndmask_b32_e32 v8, v186, v8, vcc
	v_cndmask_b32_e32 v23, v29, v27, vcc
	v_cndmask_b32_e32 v22, v28, v26, vcc
	v_cndmask_b32_e32 v21, v27, v29, vcc
	v_cndmask_b32_e32 v20, v26, v28, vcc
	;; [unrolled: 9-line block ×5, first 2 shown]
	global_store_dwordx4 v[6:7], v[40:43], off
	global_store_dwordx4 v[6:7], v[8:11], off offset:16
	global_store_dwordx4 v[6:7], v[0:3], off offset:32
	global_store_dwordx4 v[6:7], v[24:27], off offset:48
	global_store_dwordx4 v[6:7], v[16:19], off offset:64
	global_store_dwordx2 v[6:7], v[48:49], off offset:80
	global_store_dwordx4 v[4:5], v[44:47], off
	global_store_dwordx4 v[4:5], v[20:23], off offset:16
	global_store_dwordx4 v[4:5], v[12:15], off offset:32
	;; [unrolled: 1-line block ×4, first 2 shown]
	global_store_dwordx2 v[4:5], v[50:51], off offset:80
	s_endpgm
	.section	.rodata,"a",@progbits
	.p2align	6, 0x0
	.amdhsa_kernel _Z16sort_keys_valuesILj256ELj11EdxN10test_utils4lessEEvPT1_PT2_T3_
		.amdhsa_group_segment_fixed_size 0
		.amdhsa_private_segment_fixed_size 260
		.amdhsa_kernarg_size 20
		.amdhsa_user_sgpr_count 6
		.amdhsa_user_sgpr_private_segment_buffer 1
		.amdhsa_user_sgpr_dispatch_ptr 0
		.amdhsa_user_sgpr_queue_ptr 0
		.amdhsa_user_sgpr_kernarg_segment_ptr 1
		.amdhsa_user_sgpr_dispatch_id 0
		.amdhsa_user_sgpr_flat_scratch_init 0
		.amdhsa_user_sgpr_kernarg_preload_length 0
		.amdhsa_user_sgpr_kernarg_preload_offset 0
		.amdhsa_user_sgpr_private_segment_size 0
		.amdhsa_uses_dynamic_stack 0
		.amdhsa_system_sgpr_private_segment_wavefront_offset 1
		.amdhsa_system_sgpr_workgroup_id_x 1
		.amdhsa_system_sgpr_workgroup_id_y 0
		.amdhsa_system_sgpr_workgroup_id_z 0
		.amdhsa_system_sgpr_workgroup_info 0
		.amdhsa_system_vgpr_workitem_id 0
		.amdhsa_next_free_vgpr 512
		.amdhsa_next_free_sgpr 12
		.amdhsa_accum_offset 256
		.amdhsa_reserve_vcc 1
		.amdhsa_reserve_flat_scratch 0
		.amdhsa_float_round_mode_32 0
		.amdhsa_float_round_mode_16_64 0
		.amdhsa_float_denorm_mode_32 3
		.amdhsa_float_denorm_mode_16_64 3
		.amdhsa_dx10_clamp 1
		.amdhsa_ieee_mode 1
		.amdhsa_fp16_overflow 0
		.amdhsa_tg_split 0
		.amdhsa_exception_fp_ieee_invalid_op 0
		.amdhsa_exception_fp_denorm_src 0
		.amdhsa_exception_fp_ieee_div_zero 0
		.amdhsa_exception_fp_ieee_overflow 0
		.amdhsa_exception_fp_ieee_underflow 0
		.amdhsa_exception_fp_ieee_inexact 0
		.amdhsa_exception_int_div_zero 0
	.end_amdhsa_kernel
	.section	.text._Z16sort_keys_valuesILj256ELj11EdxN10test_utils4lessEEvPT1_PT2_T3_,"axG",@progbits,_Z16sort_keys_valuesILj256ELj11EdxN10test_utils4lessEEvPT1_PT2_T3_,comdat
.Lfunc_end18:
	.size	_Z16sort_keys_valuesILj256ELj11EdxN10test_utils4lessEEvPT1_PT2_T3_, .Lfunc_end18-_Z16sort_keys_valuesILj256ELj11EdxN10test_utils4lessEEvPT1_PT2_T3_
                                        ; -- End function
	.section	.AMDGPU.csdata,"",@progbits
; Kernel info:
; codeLenInByte = 62916
; NumSgprs: 16
; NumVgprs: 256
; NumAgprs: 256
; TotalNumVgprs: 512
; ScratchSize: 260
; MemoryBound: 1
; FloatMode: 240
; IeeeMode: 1
; LDSByteSize: 0 bytes/workgroup (compile time only)
; SGPRBlocks: 1
; VGPRBlocks: 63
; NumSGPRsForWavesPerEU: 16
; NumVGPRsForWavesPerEU: 512
; AccumOffset: 256
; Occupancy: 1
; WaveLimiterHint : 0
; COMPUTE_PGM_RSRC2:SCRATCH_EN: 1
; COMPUTE_PGM_RSRC2:USER_SGPR: 6
; COMPUTE_PGM_RSRC2:TRAP_HANDLER: 0
; COMPUTE_PGM_RSRC2:TGID_X_EN: 1
; COMPUTE_PGM_RSRC2:TGID_Y_EN: 0
; COMPUTE_PGM_RSRC2:TGID_Z_EN: 0
; COMPUTE_PGM_RSRC2:TIDIG_COMP_CNT: 0
; COMPUTE_PGM_RSRC3_GFX90A:ACCUM_OFFSET: 63
; COMPUTE_PGM_RSRC3_GFX90A:TG_SPLIT: 0
	.section	.text._Z16sort_keys_valuesILj256ELj10EhiN10test_utils4lessEEvPT1_PT2_T3_,"axG",@progbits,_Z16sort_keys_valuesILj256ELj10EhiN10test_utils4lessEEvPT1_PT2_T3_,comdat
	.protected	_Z16sort_keys_valuesILj256ELj10EhiN10test_utils4lessEEvPT1_PT2_T3_ ; -- Begin function _Z16sort_keys_valuesILj256ELj10EhiN10test_utils4lessEEvPT1_PT2_T3_
	.globl	_Z16sort_keys_valuesILj256ELj10EhiN10test_utils4lessEEvPT1_PT2_T3_
	.p2align	8
	.type	_Z16sort_keys_valuesILj256ELj10EhiN10test_utils4lessEEvPT1_PT2_T3_,@function
_Z16sort_keys_valuesILj256ELj10EhiN10test_utils4lessEEvPT1_PT2_T3_: ; @_Z16sort_keys_valuesILj256ELj10EhiN10test_utils4lessEEvPT1_PT2_T3_
; %bb.0:
	s_load_dwordx4 s[0:3], s[4:5], 0x0
	s_mulk_i32 s6, 0xa00
	v_mul_u32_u24_e32 v12, 10, v0
	s_mov_b32 s7, 0
	v_lshlrev_b32_e32 v13, 2, v12
	s_waitcnt lgkmcnt(0)
	s_add_u32 s4, s0, s6
	s_addc_u32 s5, s1, 0
	global_load_dwordx2 v[8:9], v12, s[4:5]
	global_load_ushort v14, v12, s[4:5] offset:8
	s_lshl_b64 s[0:1], s[6:7], 2
	s_add_u32 s6, s2, s0
	s_addc_u32 s7, s3, s1
	global_load_dwordx4 v[0:3], v13, s[6:7]
	global_load_dwordx4 v[4:7], v13, s[6:7] offset:16
	global_load_dwordx2 v[10:11], v13, s[6:7] offset:32
	s_mov_b32 s0, 0x3020004
	s_mov_b32 s12, 0x7060405
	;; [unrolled: 1-line block ×3, first 2 shown]
	s_movk_i32 s8, 0xff
	s_mov_b32 s9, 0xffff
	s_mov_b32 s13, 0x6070504
	;; [unrolled: 1-line block ×5, first 2 shown]
	s_waitcnt vmcnt(4)
	v_lshrrev_b32_e32 v15, 8, v8
	v_lshrrev_b32_e32 v17, 8, v9
	v_perm_b32 v20, v15, v8, s0
	v_cmp_lt_u16_sdwa vcc, v15, v8 src0_sel:BYTE_0 src1_sel:BYTE_0
	v_perm_b32 v16, v9, v9, s12
	s_waitcnt vmcnt(3)
	v_lshrrev_b32_e32 v18, 8, v14
	s_waitcnt vmcnt(2)
	v_cndmask_b32_e32 v15, v0, v1, vcc
	v_cndmask_b32_e32 v0, v1, v0, vcc
	;; [unrolled: 1-line block ×3, first 2 shown]
	v_cmp_lt_u16_sdwa vcc, v17, v9 src0_sel:BYTE_0 src1_sel:BYTE_0
	v_perm_b32 v19, 0, v14, s10
	s_waitcnt vmcnt(1)
	v_cndmask_b32_e32 v8, v5, v4, vcc
	v_cndmask_b32_e32 v4, v4, v5, vcc
	;; [unrolled: 1-line block ×3, first 2 shown]
	v_cmp_lt_u16_sdwa vcc, v18, v14 src0_sel:BYTE_0 src1_sel:BYTE_0
	s_waitcnt vmcnt(0)
	v_cndmask_b32_e32 v9, v11, v10, vcc
	v_cndmask_b32_e32 v10, v10, v11, vcc
	;; [unrolled: 1-line block ×3, first 2 shown]
	v_lshrrev_b32_e32 v14, 16, v1
	v_and_b32_sdwa v16, v5, s8 dst_sel:DWORD dst_unused:UNUSED_PAD src0_sel:WORD_1 src1_sel:DWORD
	v_perm_b32 v20, 0, v14, s10
	v_cmp_lt_u16_sdwa vcc, v1, v14 src0_sel:BYTE_3 src1_sel:BYTE_0
	v_cmp_lt_u16_sdwa s[0:1], v5, v16 src0_sel:BYTE_3 src1_sel:DWORD
	v_lshlrev_b32_e32 v20, 16, v20
	v_cndmask_b32_e32 v14, v3, v2, vcc
	v_cndmask_b32_e64 v16, v7, v6, s[0:1]
	v_cndmask_b32_e32 v2, v2, v3, vcc
	v_cndmask_b32_e64 v3, v6, v7, s[0:1]
	v_and_or_b32 v6, v1, s9, v20
	v_perm_b32 v17, v5, v5, s13
	v_cndmask_b32_e32 v1, v1, v6, vcc
	v_cndmask_b32_e64 v5, v5, v17, s[0:1]
	v_and_b32_sdwa v6, v1, s8 dst_sel:DWORD dst_unused:UNUSED_PAD src0_sel:WORD_1 src1_sel:DWORD
	v_lshrrev_b32_e32 v17, 8, v1
	v_perm_b32 v20, v1, v1, s11
	v_cmp_lt_u16_sdwa vcc, v6, v17 src0_sel:DWORD src1_sel:BYTE_0
	v_cndmask_b32_e32 v1, v1, v20, vcc
	v_lshlrev_b16_e32 v7, 8, v5
	v_cndmask_b32_e32 v6, v2, v0, vcc
	v_cndmask_b32_e32 v0, v0, v2, vcc
	v_perm_b32 v2, v1, v5, s14
	v_and_b32_sdwa v17, v1, s8 dst_sel:DWORD dst_unused:UNUSED_PAD src0_sel:WORD_1 src1_sel:DWORD
	v_cmp_lt_u16_sdwa vcc, v5, v1 src0_sel:BYTE_0 src1_sel:BYTE_3
	v_or_b32_sdwa v7, v17, v7 dst_sel:WORD_1 dst_unused:UNUSED_PAD src0_sel:DWORD src1_sel:DWORD
	v_cndmask_b32_e32 v2, v5, v2, vcc
	v_cndmask_b32_e32 v20, v4, v14, vcc
	;; [unrolled: 1-line block ×3, first 2 shown]
	v_and_or_b32 v5, v1, s9, v7
	v_and_b32_sdwa v7, v2, s8 dst_sel:DWORD dst_unused:UNUSED_PAD src0_sel:WORD_1 src1_sel:DWORD
	v_lshrrev_b32_e32 v14, 8, v2
	v_perm_b32 v17, v2, v2, s11
	v_cndmask_b32_e32 v1, v1, v5, vcc
	v_cmp_lt_u16_sdwa vcc, v7, v14 src0_sel:DWORD src1_sel:BYTE_0
	v_cndmask_b32_e32 v5, v3, v8, vcc
	v_cndmask_b32_e32 v3, v8, v3, vcc
	;; [unrolled: 1-line block ×3, first 2 shown]
	v_perm_b32 v7, 0, v1, s10
	v_lshrrev_b32_e32 v8, 8, v1
	v_lshlrev_b16_e32 v19, 8, v11
	v_and_b32_sdwa v14, v2, s8 dst_sel:DWORD dst_unused:UNUSED_PAD src0_sel:WORD_1 src1_sel:DWORD
	v_and_or_b32 v7, v1, s15, v7
	v_cmp_lt_u16_sdwa s[0:1], v8, v1 src0_sel:BYTE_0 src1_sel:BYTE_0
	v_or_b32_sdwa v14, v14, v19 dst_sel:WORD_1 dst_unused:UNUSED_PAD src0_sel:DWORD src1_sel:DWORD
	v_cndmask_b32_e64 v1, v1, v7, s[0:1]
	v_and_b32_e32 v18, 0xffffff00, v11
	v_cmp_lt_u16_sdwa vcc, v11, v2 src0_sel:BYTE_0 src1_sel:BYTE_3
	v_and_or_b32 v7, v2, s9, v14
	v_lshrrev_b32_e32 v14, 16, v1
	v_or_b32_sdwa v17, v2, v18 dst_sel:DWORD dst_unused:UNUSED_PAD src0_sel:BYTE_3 src1_sel:DWORD
	v_cndmask_b32_e32 v2, v2, v7, vcc
	v_perm_b32 v7, 0, v14, s10
	v_cndmask_b32_e32 v18, v10, v16, vcc
	v_cndmask_b32_e32 v10, v16, v10, vcc
	v_and_b32_e32 v16, 0xffff, v17
	v_lshlrev_b32_e32 v7, 16, v7
	v_cndmask_b32_e32 v11, v11, v16, vcc
	v_cmp_lt_u16_sdwa vcc, v1, v14 src0_sel:BYTE_3 src1_sel:BYTE_0
	v_and_or_b32 v7, v1, s9, v7
	v_cndmask_b32_e32 v1, v1, v7, vcc
	v_lshrrev_b32_e32 v7, 8, v2
	v_cndmask_b32_e32 v14, v4, v6, vcc
	v_cndmask_b32_e32 v4, v6, v4, vcc
	v_perm_b32 v6, v2, v2, s12
	v_cmp_lt_u16_sdwa vcc, v7, v2 src0_sel:BYTE_0 src1_sel:BYTE_0
	v_cndmask_b32_e32 v2, v2, v6, vcc
	v_and_b32_sdwa v6, v2, s8 dst_sel:DWORD dst_unused:UNUSED_PAD src0_sel:WORD_1 src1_sel:DWORD
	v_cndmask_b32_e32 v7, v3, v20, vcc
	v_cndmask_b32_e32 v3, v20, v3, vcc
	v_cmp_lt_u16_sdwa vcc, v2, v6 src0_sel:BYTE_3 src1_sel:DWORD
	v_cndmask_b32_e64 v8, v15, v0, s[0:1]
	v_cndmask_b32_e64 v0, v0, v15, s[0:1]
	v_perm_b32 v15, v2, v2, s13
	v_cndmask_b32_e32 v6, v10, v5, vcc
	v_cndmask_b32_e32 v5, v5, v10, vcc
	v_lshrrev_b32_e32 v10, 8, v11
	v_cndmask_b32_e32 v2, v2, v15, vcc
	v_cmp_lt_u16_sdwa vcc, v10, v11 src0_sel:BYTE_0 src1_sel:BYTE_0
	v_perm_b32 v15, 0, v11, s10
	v_and_b32_sdwa v16, v1, s8 dst_sel:DWORD dst_unused:UNUSED_PAD src0_sel:WORD_1 src1_sel:DWORD
	v_lshrrev_b32_e32 v17, 8, v1
	v_cndmask_b32_e32 v10, v9, v18, vcc
	v_cndmask_b32_e32 v9, v18, v9, vcc
	;; [unrolled: 1-line block ×3, first 2 shown]
	v_perm_b32 v18, v1, v1, s11
	v_cmp_lt_u16_sdwa vcc, v16, v17 src0_sel:DWORD src1_sel:BYTE_0
	v_cndmask_b32_e32 v1, v1, v18, vcc
	v_perm_b32 v16, v1, v2, s14
	v_cmp_lt_u16_sdwa s[0:1], v2, v1 src0_sel:BYTE_0 src1_sel:BYTE_3
	v_cndmask_b32_e64 v16, v2, v16, s[0:1]
	v_and_b32_sdwa v17, v16, s8 dst_sel:DWORD dst_unused:UNUSED_PAD src0_sel:WORD_1 src1_sel:DWORD
	v_lshrrev_b32_e32 v18, 8, v16
	v_perm_b32 v19, v16, v16, s11
	v_cmp_lt_u16_sdwa s[2:3], v17, v18 src0_sel:DWORD src1_sel:BYTE_0
	v_cndmask_b32_e64 v16, v16, v19, s[2:3]
	v_lshlrev_b16_e32 v17, 8, v11
	v_and_b32_sdwa v18, v16, s8 dst_sel:DWORD dst_unused:UNUSED_PAD src0_sel:WORD_1 src1_sel:DWORD
	v_or_b32_sdwa v17, v18, v17 dst_sel:WORD_1 dst_unused:UNUSED_PAD src0_sel:DWORD src1_sel:DWORD
	v_cndmask_b32_e32 v18, v4, v0, vcc
	v_cndmask_b32_e32 v0, v0, v4, vcc
	v_and_b32_sdwa v4, v1, s8 dst_sel:DWORD dst_unused:UNUSED_PAD src0_sel:WORD_1 src1_sel:DWORD
	v_lshlrev_b16_e32 v2, 8, v2
	v_and_b32_e32 v15, 0xffffff00, v11
	v_or_b32_sdwa v2, v4, v2 dst_sel:WORD_1 dst_unused:UNUSED_PAD src0_sel:DWORD src1_sel:DWORD
	v_or_b32_sdwa v15, v16, v15 dst_sel:DWORD dst_unused:UNUSED_PAD src0_sel:BYTE_3 src1_sel:DWORD
	v_and_or_b32 v2, v1, s9, v2
	v_cmp_lt_u16_sdwa vcc, v11, v16 src0_sel:BYTE_0 src1_sel:BYTE_3
	v_cndmask_b32_e64 v4, v3, v14, s[0:1]
	v_cndmask_b32_e64 v3, v14, v3, s[0:1]
	;; [unrolled: 1-line block ×3, first 2 shown]
	v_cndmask_b32_e32 v14, v9, v6, vcc
	v_cndmask_b32_e32 v6, v6, v9, vcc
	v_and_b32_e32 v9, 0xffff, v15
	v_cndmask_b32_e64 v2, v5, v7, s[2:3]
	v_cndmask_b32_e64 v5, v7, v5, s[2:3]
	v_and_or_b32 v7, v16, s9, v17
	v_cndmask_b32_e32 v9, v11, v9, vcc
	v_perm_b32 v11, 0, v1, s10
	v_lshrrev_b32_e32 v15, 8, v1
	v_cndmask_b32_e32 v7, v16, v7, vcc
	v_and_or_b32 v11, v1, s15, v11
	v_cmp_lt_u16_sdwa vcc, v15, v1 src0_sel:BYTE_0 src1_sel:BYTE_0
	v_cndmask_b32_e32 v1, v1, v11, vcc
	v_cndmask_b32_e32 v15, v8, v0, vcc
	v_cndmask_b32_e32 v0, v0, v8, vcc
	v_lshrrev_b32_e32 v8, 16, v1
	v_perm_b32 v11, 0, v8, s10
	v_lshlrev_b32_e32 v11, 16, v11
	v_and_or_b32 v11, v1, s9, v11
	v_cmp_lt_u16_sdwa vcc, v1, v8 src0_sel:BYTE_3 src1_sel:BYTE_0
	v_lshrrev_b32_e32 v16, 8, v7
	v_cndmask_b32_e32 v8, v3, v18, vcc
	v_cndmask_b32_e32 v3, v18, v3, vcc
	v_cndmask_b32_e32 v1, v1, v11, vcc
	v_perm_b32 v11, v7, v7, s12
	v_cmp_lt_u16_sdwa vcc, v16, v7 src0_sel:BYTE_0 src1_sel:BYTE_0
	v_cndmask_b32_e32 v16, v5, v4, vcc
	v_cndmask_b32_e32 v4, v4, v5, vcc
	v_cndmask_b32_e32 v5, v7, v11, vcc
	v_and_b32_sdwa v7, v5, s8 dst_sel:DWORD dst_unused:UNUSED_PAD src0_sel:WORD_1 src1_sel:DWORD
	v_cmp_lt_u16_sdwa vcc, v5, v7 src0_sel:BYTE_3 src1_sel:DWORD
	v_perm_b32 v11, v5, v5, s13
	v_cndmask_b32_e32 v7, v6, v2, vcc
	v_cndmask_b32_e32 v2, v2, v6, vcc
	v_lshrrev_b32_e32 v6, 8, v9
	v_cndmask_b32_e32 v5, v5, v11, vcc
	v_cmp_lt_u16_sdwa vcc, v6, v9 src0_sel:BYTE_0 src1_sel:BYTE_0
	v_cndmask_b32_e32 v6, v10, v14, vcc
	v_cndmask_b32_e32 v10, v14, v10, vcc
	v_perm_b32 v11, 0, v9, s10
	v_and_b32_sdwa v14, v1, s8 dst_sel:DWORD dst_unused:UNUSED_PAD src0_sel:WORD_1 src1_sel:DWORD
	v_lshrrev_b32_e32 v17, 8, v1
	v_cndmask_b32_e32 v9, v9, v11, vcc
	v_perm_b32 v18, v1, v1, s11
	v_cmp_lt_u16_sdwa vcc, v14, v17 src0_sel:DWORD src1_sel:BYTE_0
	v_cndmask_b32_e32 v1, v1, v18, vcc
	v_perm_b32 v14, v1, v5, s14
	v_cmp_lt_u16_sdwa s[0:1], v5, v1 src0_sel:BYTE_0 src1_sel:BYTE_3
	v_cndmask_b32_e64 v14, v5, v14, s[0:1]
	v_and_b32_sdwa v17, v14, s8 dst_sel:DWORD dst_unused:UNUSED_PAD src0_sel:WORD_1 src1_sel:DWORD
	v_lshrrev_b32_e32 v18, 8, v14
	v_perm_b32 v19, v14, v14, s11
	v_cmp_lt_u16_sdwa s[2:3], v17, v18 src0_sel:DWORD src1_sel:BYTE_0
	v_cndmask_b32_e64 v14, v14, v19, s[2:3]
	v_lshlrev_b16_e32 v17, 8, v9
	v_and_b32_sdwa v18, v14, s8 dst_sel:DWORD dst_unused:UNUSED_PAD src0_sel:WORD_1 src1_sel:DWORD
	v_or_b32_sdwa v17, v18, v17 dst_sel:WORD_1 dst_unused:UNUSED_PAD src0_sel:DWORD src1_sel:DWORD
	v_cndmask_b32_e32 v18, v3, v0, vcc
	v_cndmask_b32_e32 v0, v0, v3, vcc
	v_and_b32_sdwa v3, v1, s8 dst_sel:DWORD dst_unused:UNUSED_PAD src0_sel:WORD_1 src1_sel:DWORD
	v_lshlrev_b16_e32 v5, 8, v5
	v_and_b32_e32 v11, 0xffffff00, v9
	v_or_b32_sdwa v3, v3, v5 dst_sel:WORD_1 dst_unused:UNUSED_PAD src0_sel:DWORD src1_sel:DWORD
	v_or_b32_sdwa v11, v14, v11 dst_sel:DWORD dst_unused:UNUSED_PAD src0_sel:BYTE_3 src1_sel:DWORD
	v_and_or_b32 v3, v1, s9, v3
	v_cmp_lt_u16_sdwa vcc, v9, v14 src0_sel:BYTE_0 src1_sel:BYTE_3
	v_cndmask_b32_e64 v1, v1, v3, s[0:1]
	v_cndmask_b32_e64 v3, v2, v16, s[2:3]
	;; [unrolled: 1-line block ×3, first 2 shown]
	v_cndmask_b32_e32 v16, v10, v7, vcc
	v_cndmask_b32_e32 v7, v7, v10, vcc
	v_and_b32_e32 v10, 0xffff, v11
	v_cndmask_b32_e64 v5, v4, v8, s[0:1]
	v_cndmask_b32_e64 v4, v8, v4, s[0:1]
	v_and_or_b32 v8, v14, s9, v17
	v_cndmask_b32_e32 v9, v9, v10, vcc
	v_perm_b32 v10, 0, v1, s10
	v_lshrrev_b32_e32 v11, 8, v1
	v_cndmask_b32_e32 v8, v14, v8, vcc
	v_and_or_b32 v10, v1, s15, v10
	v_cmp_lt_u16_sdwa vcc, v11, v1 src0_sel:BYTE_0 src1_sel:BYTE_0
	v_cndmask_b32_e32 v1, v1, v10, vcc
	v_lshrrev_b32_e32 v10, 16, v1
	v_perm_b32 v14, 0, v10, s10
	v_lshlrev_b32_e32 v14, 16, v14
	v_cndmask_b32_e32 v11, v15, v0, vcc
	v_cndmask_b32_e32 v0, v0, v15, vcc
	v_and_or_b32 v14, v1, s9, v14
	v_cmp_lt_u16_sdwa vcc, v1, v10 src0_sel:BYTE_3 src1_sel:BYTE_0
	v_lshrrev_b32_e32 v15, 8, v8
	v_cndmask_b32_e32 v10, v4, v18, vcc
	v_cndmask_b32_e32 v4, v18, v4, vcc
	;; [unrolled: 1-line block ×3, first 2 shown]
	v_perm_b32 v14, v8, v8, s12
	v_cmp_lt_u16_sdwa vcc, v15, v8 src0_sel:BYTE_0 src1_sel:BYTE_0
	v_cndmask_b32_e32 v15, v2, v5, vcc
	v_cndmask_b32_e32 v2, v5, v2, vcc
	;; [unrolled: 1-line block ×3, first 2 shown]
	v_and_b32_sdwa v8, v5, s8 dst_sel:DWORD dst_unused:UNUSED_PAD src0_sel:WORD_1 src1_sel:DWORD
	v_cmp_lt_u16_sdwa vcc, v5, v8 src0_sel:BYTE_3 src1_sel:DWORD
	v_perm_b32 v14, v5, v5, s13
	v_cndmask_b32_e32 v8, v7, v3, vcc
	v_cndmask_b32_e32 v3, v3, v7, vcc
	v_lshrrev_b32_e32 v7, 8, v9
	v_cndmask_b32_e32 v5, v5, v14, vcc
	v_cmp_lt_u16_sdwa vcc, v7, v9 src0_sel:BYTE_0 src1_sel:BYTE_0
	v_cndmask_b32_e32 v7, v6, v16, vcc
	v_cndmask_b32_e32 v6, v16, v6, vcc
	v_perm_b32 v14, 0, v9, s10
	v_and_b32_sdwa v16, v1, s8 dst_sel:DWORD dst_unused:UNUSED_PAD src0_sel:WORD_1 src1_sel:DWORD
	v_lshrrev_b32_e32 v17, 8, v1
	v_cndmask_b32_e32 v9, v9, v14, vcc
	v_perm_b32 v18, v1, v1, s11
	v_cmp_lt_u16_sdwa vcc, v16, v17 src0_sel:DWORD src1_sel:BYTE_0
	v_cndmask_b32_e32 v1, v1, v18, vcc
	v_perm_b32 v16, v1, v5, s14
	v_cmp_lt_u16_sdwa s[0:1], v5, v1 src0_sel:BYTE_0 src1_sel:BYTE_3
	v_cndmask_b32_e64 v16, v5, v16, s[0:1]
	v_and_b32_sdwa v17, v16, s8 dst_sel:DWORD dst_unused:UNUSED_PAD src0_sel:WORD_1 src1_sel:DWORD
	v_lshrrev_b32_e32 v18, 8, v16
	v_perm_b32 v19, v16, v16, s11
	v_cmp_lt_u16_sdwa s[2:3], v17, v18 src0_sel:DWORD src1_sel:BYTE_0
	v_cndmask_b32_e64 v16, v16, v19, s[2:3]
	v_lshlrev_b16_e32 v17, 8, v9
	v_and_b32_sdwa v18, v16, s8 dst_sel:DWORD dst_unused:UNUSED_PAD src0_sel:WORD_1 src1_sel:DWORD
	v_or_b32_sdwa v17, v18, v17 dst_sel:WORD_1 dst_unused:UNUSED_PAD src0_sel:DWORD src1_sel:DWORD
	v_cndmask_b32_e32 v18, v4, v0, vcc
	v_cndmask_b32_e32 v4, v0, v4, vcc
	v_and_b32_sdwa v0, v1, s8 dst_sel:DWORD dst_unused:UNUSED_PAD src0_sel:WORD_1 src1_sel:DWORD
	v_lshlrev_b16_e32 v5, 8, v5
	v_and_b32_e32 v14, 0xffffff00, v9
	v_or_b32_sdwa v0, v0, v5 dst_sel:WORD_1 dst_unused:UNUSED_PAD src0_sel:DWORD src1_sel:DWORD
	v_or_b32_sdwa v14, v16, v14 dst_sel:DWORD dst_unused:UNUSED_PAD src0_sel:BYTE_3 src1_sel:DWORD
	v_and_or_b32 v0, v1, s9, v0
	v_cmp_lt_u16_sdwa vcc, v9, v16 src0_sel:BYTE_0 src1_sel:BYTE_3
	v_cndmask_b32_e64 v5, v2, v10, s[0:1]
	v_cndmask_b32_e64 v2, v10, v2, s[0:1]
	;; [unrolled: 1-line block ×5, first 2 shown]
	v_and_or_b32 v0, v16, s9, v17
	v_cndmask_b32_e32 v15, v6, v8, vcc
	v_cndmask_b32_e32 v6, v8, v6, vcc
	v_and_b32_e32 v8, 0xffff, v14
	v_cndmask_b32_e32 v8, v9, v8, vcc
	v_cndmask_b32_e32 v9, v16, v0, vcc
	v_perm_b32 v0, 0, v1, s10
	v_and_or_b32 v14, v1, s15, v0
	v_lshrrev_b32_e32 v0, 8, v1
	v_cmp_lt_u16_sdwa vcc, v0, v1 src0_sel:BYTE_0 src1_sel:BYTE_0
	v_cndmask_b32_e32 v1, v1, v14, vcc
	v_cndmask_b32_e32 v0, v11, v4, vcc
	;; [unrolled: 1-line block ×3, first 2 shown]
	v_lshrrev_b32_e32 v11, 16, v1
	v_perm_b32 v14, 0, v11, s10
	v_lshlrev_b32_e32 v14, 16, v14
	v_and_or_b32 v14, v1, s9, v14
	v_cmp_lt_u16_sdwa vcc, v1, v11 src0_sel:BYTE_3 src1_sel:BYTE_0
	v_cndmask_b32_e32 v1, v1, v14, vcc
	v_lshrrev_b32_e32 v14, 8, v9
	v_cndmask_b32_e32 v11, v2, v18, vcc
	v_cndmask_b32_e32 v16, v18, v2, vcc
	v_perm_b32 v2, v9, v9, s12
	v_cmp_lt_u16_sdwa vcc, v14, v9 src0_sel:BYTE_0 src1_sel:BYTE_0
	v_cndmask_b32_e32 v2, v9, v2, vcc
	v_cndmask_b32_e32 v14, v3, v5, vcc
	v_cndmask_b32_e32 v3, v5, v3, vcc
	v_and_b32_sdwa v5, v2, s8 dst_sel:DWORD dst_unused:UNUSED_PAD src0_sel:WORD_1 src1_sel:DWORD
	v_cmp_lt_u16_sdwa vcc, v2, v5 src0_sel:BYTE_3 src1_sel:DWORD
	v_perm_b32 v9, v2, v2, s13
	v_cndmask_b32_e32 v17, v6, v10, vcc
	v_cndmask_b32_e32 v5, v10, v6, vcc
	v_lshrrev_b32_e32 v6, 8, v8
	v_cndmask_b32_e32 v2, v2, v9, vcc
	v_cmp_lt_u16_sdwa vcc, v6, v8 src0_sel:BYTE_0 src1_sel:BYTE_0
	v_perm_b32 v6, 0, v8, s10
	v_cndmask_b32_e32 v9, v7, v15, vcc
	v_cndmask_b32_e32 v7, v15, v7, vcc
	;; [unrolled: 1-line block ×3, first 2 shown]
	v_and_b32_sdwa v8, v1, s8 dst_sel:DWORD dst_unused:UNUSED_PAD src0_sel:WORD_1 src1_sel:DWORD
	v_lshrrev_b32_e32 v10, 8, v1
	v_perm_b32 v18, v1, v1, s11
	v_cmp_lt_u16_sdwa vcc, v8, v10 src0_sel:DWORD src1_sel:BYTE_0
	v_cndmask_b32_e32 v1, v1, v18, vcc
	v_and_b32_sdwa v10, v1, s8 dst_sel:DWORD dst_unused:UNUSED_PAD src0_sel:WORD_1 src1_sel:DWORD
	v_lshlrev_b16_e32 v18, 8, v2
	v_or_b32_sdwa v10, v10, v18 dst_sel:WORD_1 dst_unused:UNUSED_PAD src0_sel:DWORD src1_sel:DWORD
	v_perm_b32 v8, v1, v2, s14
	v_and_or_b32 v10, v1, s9, v10
	v_cmp_lt_u16_sdwa s[0:1], v2, v1 src0_sel:BYTE_0 src1_sel:BYTE_3
	v_cndmask_b32_e64 v10, v1, v10, s[0:1]
	v_cndmask_b32_e64 v1, v2, v8, s[0:1]
	v_and_b32_sdwa v2, v1, s8 dst_sel:DWORD dst_unused:UNUSED_PAD src0_sel:WORD_1 src1_sel:DWORD
	v_lshrrev_b32_e32 v8, 8, v1
	v_perm_b32 v18, v1, v1, s11
	v_cmp_lt_u16_sdwa s[2:3], v2, v8 src0_sel:DWORD src1_sel:BYTE_0
	v_cndmask_b32_e64 v18, v1, v18, s[2:3]
	v_and_b32_e32 v6, 0xffffff00, v15
	v_lshlrev_b16_e32 v1, 8, v15
	v_and_b32_sdwa v2, v18, s8 dst_sel:DWORD dst_unused:UNUSED_PAD src0_sel:WORD_1 src1_sel:DWORD
	v_or_b32_sdwa v19, v18, v6 dst_sel:DWORD dst_unused:UNUSED_PAD src0_sel:BYTE_3 src1_sel:DWORD
	v_or_b32_sdwa v8, v2, v1 dst_sel:WORD_1 dst_unused:UNUSED_PAD src0_sel:DWORD src1_sel:DWORD
	v_cndmask_b32_e32 v2, v16, v4, vcc
	v_cndmask_b32_e32 v1, v4, v16, vcc
	v_cmp_lt_u16_sdwa vcc, v15, v18 src0_sel:BYTE_0 src1_sel:BYTE_3
	v_cndmask_b32_e64 v4, v3, v11, s[0:1]
	v_cndmask_b32_e64 v3, v11, v3, s[0:1]
	;; [unrolled: 1-line block ×4, first 2 shown]
	v_and_or_b32 v11, v18, s9, v8
	v_cndmask_b32_e32 v14, v15, v19, vcc
	v_cndmask_b32_e32 v8, v7, v17, vcc
	;; [unrolled: 1-line block ×4, first 2 shown]
	global_store_short v12, v14, s[4:5] offset:8
	global_store_dwordx2 v12, v[10:11], s[4:5]
	global_store_dwordx4 v13, v[0:3], s[6:7]
	global_store_dwordx4 v13, v[4:7], s[6:7] offset:16
	global_store_dwordx2 v13, v[8:9], s[6:7] offset:32
	s_endpgm
	.section	.rodata,"a",@progbits
	.p2align	6, 0x0
	.amdhsa_kernel _Z16sort_keys_valuesILj256ELj10EhiN10test_utils4lessEEvPT1_PT2_T3_
		.amdhsa_group_segment_fixed_size 0
		.amdhsa_private_segment_fixed_size 0
		.amdhsa_kernarg_size 20
		.amdhsa_user_sgpr_count 6
		.amdhsa_user_sgpr_private_segment_buffer 1
		.amdhsa_user_sgpr_dispatch_ptr 0
		.amdhsa_user_sgpr_queue_ptr 0
		.amdhsa_user_sgpr_kernarg_segment_ptr 1
		.amdhsa_user_sgpr_dispatch_id 0
		.amdhsa_user_sgpr_flat_scratch_init 0
		.amdhsa_user_sgpr_kernarg_preload_length 0
		.amdhsa_user_sgpr_kernarg_preload_offset 0
		.amdhsa_user_sgpr_private_segment_size 0
		.amdhsa_uses_dynamic_stack 0
		.amdhsa_system_sgpr_private_segment_wavefront_offset 0
		.amdhsa_system_sgpr_workgroup_id_x 1
		.amdhsa_system_sgpr_workgroup_id_y 0
		.amdhsa_system_sgpr_workgroup_id_z 0
		.amdhsa_system_sgpr_workgroup_info 0
		.amdhsa_system_vgpr_workitem_id 0
		.amdhsa_next_free_vgpr 21
		.amdhsa_next_free_sgpr 16
		.amdhsa_accum_offset 24
		.amdhsa_reserve_vcc 1
		.amdhsa_reserve_flat_scratch 0
		.amdhsa_float_round_mode_32 0
		.amdhsa_float_round_mode_16_64 0
		.amdhsa_float_denorm_mode_32 3
		.amdhsa_float_denorm_mode_16_64 3
		.amdhsa_dx10_clamp 1
		.amdhsa_ieee_mode 1
		.amdhsa_fp16_overflow 0
		.amdhsa_tg_split 0
		.amdhsa_exception_fp_ieee_invalid_op 0
		.amdhsa_exception_fp_denorm_src 0
		.amdhsa_exception_fp_ieee_div_zero 0
		.amdhsa_exception_fp_ieee_overflow 0
		.amdhsa_exception_fp_ieee_underflow 0
		.amdhsa_exception_fp_ieee_inexact 0
		.amdhsa_exception_int_div_zero 0
	.end_amdhsa_kernel
	.section	.text._Z16sort_keys_valuesILj256ELj10EhiN10test_utils4lessEEvPT1_PT2_T3_,"axG",@progbits,_Z16sort_keys_valuesILj256ELj10EhiN10test_utils4lessEEvPT1_PT2_T3_,comdat
.Lfunc_end19:
	.size	_Z16sort_keys_valuesILj256ELj10EhiN10test_utils4lessEEvPT1_PT2_T3_, .Lfunc_end19-_Z16sort_keys_valuesILj256ELj10EhiN10test_utils4lessEEvPT1_PT2_T3_
                                        ; -- End function
	.section	.AMDGPU.csdata,"",@progbits
; Kernel info:
; codeLenInByte = 2340
; NumSgprs: 20
; NumVgprs: 21
; NumAgprs: 0
; TotalNumVgprs: 21
; ScratchSize: 0
; MemoryBound: 0
; FloatMode: 240
; IeeeMode: 1
; LDSByteSize: 0 bytes/workgroup (compile time only)
; SGPRBlocks: 2
; VGPRBlocks: 2
; NumSGPRsForWavesPerEU: 20
; NumVGPRsForWavesPerEU: 21
; AccumOffset: 24
; Occupancy: 8
; WaveLimiterHint : 0
; COMPUTE_PGM_RSRC2:SCRATCH_EN: 0
; COMPUTE_PGM_RSRC2:USER_SGPR: 6
; COMPUTE_PGM_RSRC2:TRAP_HANDLER: 0
; COMPUTE_PGM_RSRC2:TGID_X_EN: 1
; COMPUTE_PGM_RSRC2:TGID_Y_EN: 0
; COMPUTE_PGM_RSRC2:TGID_Z_EN: 0
; COMPUTE_PGM_RSRC2:TIDIG_COMP_CNT: 0
; COMPUTE_PGM_RSRC3_GFX90A:ACCUM_OFFSET: 5
; COMPUTE_PGM_RSRC3_GFX90A:TG_SPLIT: 0
	.section	.text._Z16sort_keys_valuesILj256ELj9EycN10test_utils4lessEEvPT1_PT2_T3_,"axG",@progbits,_Z16sort_keys_valuesILj256ELj9EycN10test_utils4lessEEvPT1_PT2_T3_,comdat
	.protected	_Z16sort_keys_valuesILj256ELj9EycN10test_utils4lessEEvPT1_PT2_T3_ ; -- Begin function _Z16sort_keys_valuesILj256ELj9EycN10test_utils4lessEEvPT1_PT2_T3_
	.globl	_Z16sort_keys_valuesILj256ELj9EycN10test_utils4lessEEvPT1_PT2_T3_
	.p2align	8
	.type	_Z16sort_keys_valuesILj256ELj9EycN10test_utils4lessEEvPT1_PT2_T3_,@function
_Z16sort_keys_valuesILj256ELj9EycN10test_utils4lessEEvPT1_PT2_T3_: ; @_Z16sort_keys_valuesILj256ELj9EycN10test_utils4lessEEvPT1_PT2_T3_
; %bb.0:
	s_load_dwordx4 s[0:3], s[4:5], 0x0
	s_mul_i32 s4, s6, 0x900
	s_mov_b32 s5, 0
	s_lshl_b64 s[6:7], s[4:5], 3
	v_mul_u32_u24_e32 v0, 9, v0
	s_waitcnt lgkmcnt(0)
	s_add_u32 s10, s0, s6
	s_addc_u32 s11, s1, s7
	s_add_u32 s12, s2, s4
	s_addc_u32 s13, s3, 0
	global_load_dwordx2 v[18:19], v0, s[12:13]
	global_load_ubyte v24, v0, s[12:13] offset:8
	v_lshlrev_b32_e32 v1, 3, v0
	global_load_dwordx4 v[2:5], v1, s[10:11] offset:32
	global_load_dwordx4 v[6:9], v1, s[10:11]
	global_load_dwordx4 v[10:13], v1, s[10:11] offset:48
	global_load_dwordx4 v[14:17], v1, s[10:11] offset:16
	global_load_dwordx2 v[20:21], v1, s[10:11] offset:64
	s_mov_b32 s0, 0x3020004
	v_mov_b32_e32 v22, 0x3020104
	s_mov_b32 s16, 0x7060405
	s_mov_b32 s17, 0x6070504
	;; [unrolled: 1-line block ×5, first 2 shown]
	s_movk_i32 s18, 0xff
	s_mov_b32 s21, 0x3020107
	s_mov_b32 s19, 0xffff0000
	;; [unrolled: 1-line block ×3, first 2 shown]
	s_waitcnt vmcnt(4)
	v_cmp_lt_u64_e32 vcc, v[4:5], v[2:3]
	v_lshrrev_b32_e32 v23, 8, v18
	v_perm_b32 v25, v24, s0, v22
	v_perm_b32 v22, v19, v19, s16
	;; [unrolled: 1-line block ×3, first 2 shown]
	v_cndmask_b32_e32 v19, v19, v22, vcc
	v_cndmask_b32_e32 v23, v5, v3, vcc
	;; [unrolled: 1-line block ×5, first 2 shown]
	s_waitcnt vmcnt(3)
	v_cmp_lt_u64_e32 vcc, v[8:9], v[6:7]
	v_cndmask_b32_e32 v18, v18, v26, vcc
	v_cndmask_b32_e32 v5, v7, v9, vcc
	;; [unrolled: 1-line block ×5, first 2 shown]
	v_perm_b32 v8, v19, v19, s17
	v_lshrrev_b32_e32 v26, 16, v18
	s_waitcnt vmcnt(2)
	v_cmp_lt_u64_e32 vcc, v[12:13], v[10:11]
	v_cndmask_b32_e32 v19, v19, v8, vcc
	v_cndmask_b32_e32 v8, v12, v10, vcc
	;; [unrolled: 1-line block ×3, first 2 shown]
	v_perm_b32 v12, 0, v26, s14
	v_lshlrev_b32_e32 v12, 16, v12
	v_cndmask_b32_e32 v9, v13, v11, vcc
	v_cndmask_b32_e32 v11, v11, v13, vcc
	v_and_or_b32 v12, v18, s15, v12
	s_waitcnt vmcnt(1)
	v_cmp_lt_u64_e32 vcc, v[16:17], v[14:15]
	v_cndmask_b32_e32 v18, v18, v12, vcc
	v_cndmask_b32_e32 v13, v17, v15, vcc
	;; [unrolled: 1-line block ×5, first 2 shown]
	v_perm_b32 v16, v18, v18, s20
	v_cmp_lt_u64_e32 vcc, v[14:15], v[6:7]
	v_cndmask_b32_e32 v18, v18, v16, vcc
	v_lshlrev_b16_e32 v26, 8, v19
	v_cndmask_b32_e32 v17, v15, v7, vcc
	v_cndmask_b32_e32 v7, v7, v15, vcc
	v_and_b32_sdwa v15, v18, s18 dst_sel:DWORD dst_unused:UNUSED_PAD src0_sel:WORD_1 src1_sel:DWORD
	v_or_b32_sdwa v15, v15, v26 dst_sel:WORD_1 dst_unused:UNUSED_PAD src0_sel:DWORD src1_sel:DWORD
	v_cndmask_b32_e32 v16, v14, v6, vcc
	v_cndmask_b32_e32 v6, v6, v14, vcc
	v_perm_b32 v14, v18, v19, s21
	v_and_or_b32 v15, v18, s15, v15
	v_cmp_lt_u64_e32 vcc, v[2:3], v[12:13]
	v_cndmask_b32_e32 v18, v18, v15, vcc
	v_cndmask_b32_e32 v19, v19, v14, vcc
	;; [unrolled: 1-line block ×6, first 2 shown]
	v_perm_b32 v12, v19, v19, s20
	v_perm_b32 v26, 0, v18, s14
	v_cmp_lt_u64_e32 vcc, v[10:11], v[22:23]
	v_cndmask_b32_e32 v27, v19, v12, vcc
	v_cndmask_b32_e32 v13, v11, v23, vcc
	;; [unrolled: 1-line block ×5, first 2 shown]
	v_and_or_b32 v19, v18, s19, v26
	v_cmp_lt_u64_e32 vcc, v[6:7], v[4:5]
	v_lshrrev_b32_e32 v22, 24, v27
	v_perm_b32 v23, v27, v24, s1
	v_cndmask_b32_e32 v24, v18, v19, vcc
	s_waitcnt vmcnt(0)
	v_cmp_lt_u64_e64 s[0:1], v[20:21], v[8:9]
	v_cndmask_b32_e64 v26, v27, v23, s[0:1]
	v_cndmask_b32_e64 v27, v25, v22, s[0:1]
	v_lshrrev_b32_e32 v25, 16, v24
	v_perm_b32 v25, 0, v25, s14
	v_lshlrev_b32_e32 v25, 16, v25
	v_and_or_b32 v25, v24, s15, v25
	v_cmp_lt_u64_e64 s[2:3], v[2:3], v[16:17]
	v_perm_b32 v29, v26, v26, s16
	v_cndmask_b32_e64 v30, v24, v25, s[2:3]
	v_cndmask_b32_e64 v25, v3, v17, s[2:3]
	;; [unrolled: 1-line block ×5, first 2 shown]
	v_cmp_lt_u64_e64 s[2:3], v[10:11], v[14:15]
	v_cndmask_b32_e32 v19, v7, v5, vcc
	v_cndmask_b32_e32 v18, v6, v4, vcc
	v_cndmask_b32_e64 v23, v9, v21, s[0:1]
	v_cndmask_b32_e64 v22, v8, v20, s[0:1]
	;; [unrolled: 1-line block ×7, first 2 shown]
	v_perm_b32 v14, v26, v26, s17
	v_cmp_lt_u64_e64 s[2:3], v[22:23], v[12:13]
	v_perm_b32 v29, v30, v30, s20
	v_cmp_lt_u64_e64 s[4:5], v[2:3], v[18:19]
	v_cndmask_b32_e64 v26, v26, v14, s[2:3]
	v_cndmask_b32_e64 v29, v30, v29, s[4:5]
	v_perm_b32 v30, v29, v26, s21
	v_cmp_lt_u64_e64 s[6:7], v[10:11], v[24:25]
	v_cndmask_b32_e64 v15, v13, v23, s[2:3]
	v_cndmask_b32_e64 v14, v12, v22, s[2:3]
	;; [unrolled: 1-line block ×3, first 2 shown]
	v_perm_b32 v31, v30, v30, s20
	v_cmp_lt_u64_e64 s[8:9], v[14:15], v[16:17]
	v_cndmask_b32_e64 v30, v30, v31, s[8:9]
	v_cndmask_b32_e32 v5, v5, v7, vcc
	v_cndmask_b32_e32 v4, v4, v6, vcc
	v_cndmask_b32_e64 v7, v23, v13, s[2:3]
	v_cndmask_b32_e64 v6, v22, v12, s[2:3]
	v_and_b32_sdwa v12, v29, s18 dst_sel:DWORD dst_unused:UNUSED_PAD src0_sel:WORD_1 src1_sel:DWORD
	v_lshlrev_b16_e32 v13, 8, v26
	v_lshlrev_b16_e32 v28, 8, v27
	v_and_b32_sdwa v31, v30, s18 dst_sel:DWORD dst_unused:UNUSED_PAD src0_sel:WORD_1 src1_sel:DWORD
	v_cndmask_b32_e64 v8, v20, v8, s[0:1]
	v_or_b32_sdwa v20, v12, v13 dst_sel:WORD_1 dst_unused:UNUSED_PAD src0_sel:DWORD src1_sel:DWORD
	v_or_b32_sdwa v28, v31, v28 dst_sel:WORD_1 dst_unused:UNUSED_PAD src0_sel:DWORD src1_sel:DWORD
	v_cndmask_b32_e64 v9, v21, v9, s[0:1]
	v_cndmask_b32_e64 v12, v2, v18, s[4:5]
	;; [unrolled: 1-line block ×3, first 2 shown]
	v_and_or_b32 v18, v29, s15, v20
	v_cndmask_b32_e64 v22, v29, v18, s[6:7]
	v_cndmask_b32_e64 v20, v14, v16, s[8:9]
	;; [unrolled: 1-line block ×3, first 2 shown]
	v_and_or_b32 v16, v30, s15, v28
	v_cmp_lt_u64_e32 vcc, v[8:9], v[6:7]
	v_cndmask_b32_e64 v13, v3, v19, s[4:5]
	v_cndmask_b32_e64 v3, v19, v3, s[4:5]
	v_cndmask_b32_e32 v26, v30, v16, vcc
	v_perm_b32 v16, 0, v22, s14
	v_cndmask_b32_e64 v18, v10, v24, s[6:7]
	v_cndmask_b32_e64 v10, v24, v10, s[6:7]
	v_and_or_b32 v24, v22, s19, v16
	v_cmp_lt_u64_e64 s[0:1], v[2:3], v[4:5]
	v_cndmask_b32_e64 v24, v22, v24, s[0:1]
	v_lshrrev_b32_e32 v22, 16, v24
	v_cndmask_b32_e64 v19, v11, v25, s[6:7]
	v_cndmask_b32_e64 v11, v25, v11, s[6:7]
	v_perm_b32 v25, 0, v22, s14
	v_lshlrev_b32_e32 v25, 16, v25
	v_cndmask_b32_e64 v21, v15, v17, s[8:9]
	v_cndmask_b32_e64 v15, v17, v15, s[8:9]
	v_and_or_b32 v25, v24, s15, v25
	v_cmp_lt_u64_e64 s[2:3], v[10:11], v[12:13]
	v_lshrrev_b32_e32 v23, 24, v30
	v_cndmask_b32_e64 v29, v24, v25, s[2:3]
	v_perm_b32 v30, v26, v26, s16
	v_cndmask_b32_e64 v25, v11, v13, s[2:3]
	v_cndmask_b32_e64 v24, v10, v12, s[2:3]
	v_cndmask_b32_e64 v11, v13, v11, s[2:3]
	v_cndmask_b32_e64 v10, v12, v10, s[2:3]
	v_cmp_lt_u64_e64 s[2:3], v[14:15], v[18:19]
	v_cndmask_b32_e32 v27, v27, v23, vcc
	v_cndmask_b32_e32 v17, v7, v9, vcc
	;; [unrolled: 1-line block ×3, first 2 shown]
	v_cndmask_b32_e64 v23, v3, v5, s[0:1]
	v_cndmask_b32_e64 v22, v2, v4, s[0:1]
	;; [unrolled: 1-line block ×7, first 2 shown]
	v_perm_b32 v18, v26, v26, s17
	v_cmp_lt_u64_e64 s[2:3], v[16:17], v[20:21]
	v_perm_b32 v30, v29, v29, s20
	v_cmp_lt_u64_e64 s[4:5], v[10:11], v[22:23]
	v_cndmask_b32_e64 v26, v26, v18, s[2:3]
	v_cndmask_b32_e64 v29, v29, v30, s[4:5]
	v_perm_b32 v30, v29, v26, s21
	v_cmp_lt_u64_e64 s[6:7], v[14:15], v[24:25]
	v_cndmask_b32_e64 v19, v21, v17, s[2:3]
	v_cndmask_b32_e64 v18, v20, v16, s[2:3]
	;; [unrolled: 1-line block ×3, first 2 shown]
	v_perm_b32 v31, v30, v30, s20
	v_cmp_lt_u64_e64 s[8:9], v[18:19], v[12:13]
	v_cndmask_b32_e64 v30, v30, v31, s[8:9]
	v_cndmask_b32_e32 v7, v9, v7, vcc
	v_cndmask_b32_e32 v6, v8, v6, vcc
	v_and_b32_sdwa v8, v29, s18 dst_sel:DWORD dst_unused:UNUSED_PAD src0_sel:WORD_1 src1_sel:DWORD
	v_lshlrev_b16_e32 v9, 8, v26
	v_lshlrev_b16_e32 v28, 8, v27
	v_and_b32_sdwa v31, v30, s18 dst_sel:DWORD dst_unused:UNUSED_PAD src0_sel:WORD_1 src1_sel:DWORD
	v_cndmask_b32_e64 v2, v4, v2, s[0:1]
	v_cndmask_b32_e64 v4, v16, v20, s[2:3]
	v_or_b32_sdwa v16, v8, v9 dst_sel:WORD_1 dst_unused:UNUSED_PAD src0_sel:DWORD src1_sel:DWORD
	v_or_b32_sdwa v28, v31, v28 dst_sel:WORD_1 dst_unused:UNUSED_PAD src0_sel:DWORD src1_sel:DWORD
	v_cndmask_b32_e64 v3, v5, v3, s[0:1]
	v_cndmask_b32_e64 v5, v17, v21, s[2:3]
	v_and_or_b32 v16, v29, s15, v16
	v_cndmask_b32_e64 v8, v10, v22, s[4:5]
	v_cndmask_b32_e64 v10, v22, v10, s[4:5]
	;; [unrolled: 1-line block ×5, first 2 shown]
	v_and_or_b32 v18, v30, s15, v28
	v_cmp_lt_u64_e32 vcc, v[6:7], v[4:5]
	v_cndmask_b32_e64 v9, v11, v23, s[4:5]
	v_cndmask_b32_e64 v11, v23, v11, s[4:5]
	v_cndmask_b32_e32 v26, v30, v18, vcc
	v_perm_b32 v18, 0, v22, s14
	v_cndmask_b32_e64 v16, v14, v24, s[6:7]
	v_cndmask_b32_e64 v14, v24, v14, s[6:7]
	v_and_or_b32 v24, v22, s19, v18
	v_cmp_lt_u64_e64 s[0:1], v[10:11], v[2:3]
	v_cndmask_b32_e64 v24, v22, v24, s[0:1]
	v_lshrrev_b32_e32 v22, 16, v24
	v_cndmask_b32_e64 v17, v15, v25, s[6:7]
	v_cndmask_b32_e64 v15, v25, v15, s[6:7]
	v_perm_b32 v25, 0, v22, s14
	v_lshlrev_b32_e32 v25, 16, v25
	v_cndmask_b32_e64 v21, v19, v13, s[8:9]
	v_cndmask_b32_e64 v13, v13, v19, s[8:9]
	v_and_or_b32 v25, v24, s15, v25
	v_cmp_lt_u64_e64 s[2:3], v[14:15], v[8:9]
	v_lshrrev_b32_e32 v23, 24, v30
	v_cndmask_b32_e64 v29, v24, v25, s[2:3]
	v_perm_b32 v30, v26, v26, s16
	v_cndmask_b32_e64 v25, v15, v9, s[2:3]
	v_cndmask_b32_e64 v24, v14, v8, s[2:3]
	;; [unrolled: 1-line block ×4, first 2 shown]
	v_cmp_lt_u64_e64 s[2:3], v[12:13], v[16:17]
	v_cndmask_b32_e32 v27, v27, v23, vcc
	v_cndmask_b32_e32 v19, v5, v7, vcc
	v_cndmask_b32_e32 v18, v4, v6, vcc
	v_cndmask_b32_e64 v23, v11, v3, s[0:1]
	v_cndmask_b32_e64 v22, v10, v2, s[0:1]
	;; [unrolled: 1-line block ×7, first 2 shown]
	v_perm_b32 v16, v26, v26, s17
	v_cmp_lt_u64_e64 s[2:3], v[18:19], v[20:21]
	v_perm_b32 v30, v29, v29, s20
	v_cmp_lt_u64_e64 s[4:5], v[8:9], v[22:23]
	v_cndmask_b32_e64 v26, v26, v16, s[2:3]
	v_cndmask_b32_e64 v29, v29, v30, s[4:5]
	v_perm_b32 v30, v29, v26, s21
	v_cmp_lt_u64_e64 s[6:7], v[12:13], v[24:25]
	v_cndmask_b32_e64 v17, v21, v19, s[2:3]
	v_cndmask_b32_e64 v16, v20, v18, s[2:3]
	;; [unrolled: 1-line block ×3, first 2 shown]
	v_perm_b32 v31, v30, v30, s20
	v_cmp_lt_u64_e64 s[8:9], v[16:17], v[14:15]
	v_cndmask_b32_e64 v3, v3, v11, s[0:1]
	v_cndmask_b32_e64 v2, v2, v10, s[0:1]
	v_and_b32_sdwa v10, v29, s18 dst_sel:DWORD dst_unused:UNUSED_PAD src0_sel:WORD_1 src1_sel:DWORD
	v_lshlrev_b16_e32 v11, 8, v26
	v_cndmask_b32_e64 v30, v30, v31, s[8:9]
	v_cndmask_b32_e32 v4, v6, v4, vcc
	v_cndmask_b32_e64 v6, v18, v20, s[2:3]
	v_or_b32_sdwa v18, v10, v11 dst_sel:WORD_1 dst_unused:UNUSED_PAD src0_sel:DWORD src1_sel:DWORD
	v_lshlrev_b16_e32 v28, 8, v27
	v_and_b32_sdwa v31, v30, s18 dst_sel:DWORD dst_unused:UNUSED_PAD src0_sel:WORD_1 src1_sel:DWORD
	v_and_or_b32 v18, v29, s15, v18
	v_or_b32_sdwa v28, v31, v28 dst_sel:WORD_1 dst_unused:UNUSED_PAD src0_sel:DWORD src1_sel:DWORD
	v_cndmask_b32_e32 v5, v7, v5, vcc
	v_cndmask_b32_e64 v7, v19, v21, s[2:3]
	v_cndmask_b32_e64 v26, v29, v18, s[6:7]
	;; [unrolled: 1-line block ×6, first 2 shown]
	v_lshrrev_b32_e32 v22, 24, v30
	v_cndmask_b32_e64 v21, v17, v15, s[8:9]
	v_cndmask_b32_e64 v20, v16, v14, s[8:9]
	;; [unrolled: 1-line block ×4, first 2 shown]
	v_and_or_b32 v16, v30, s15, v28
	v_cmp_lt_u64_e32 vcc, v[4:5], v[6:7]
	v_perm_b32 v17, 0, v26, s14
	v_cndmask_b32_e64 v19, v13, v25, s[6:7]
	v_cndmask_b32_e64 v18, v12, v24, s[6:7]
	;; [unrolled: 1-line block ×4, first 2 shown]
	v_cndmask_b32_e32 v16, v30, v16, vcc
	v_and_or_b32 v17, v26, s19, v17
	v_cndmask_b32_e32 v28, v27, v22, vcc
	v_cndmask_b32_e32 v23, v5, v7, vcc
	;; [unrolled: 1-line block ×5, first 2 shown]
	v_cmp_lt_u64_e32 vcc, v[8:9], v[2:3]
	v_cndmask_b32_e32 v6, v26, v17, vcc
	v_lshrrev_b32_e32 v4, 16, v6
	v_perm_b32 v7, 0, v4, s14
	v_lshlrev_b32_e32 v7, 16, v7
	v_cndmask_b32_e32 v5, v9, v3, vcc
	v_cndmask_b32_e32 v4, v8, v2, vcc
	;; [unrolled: 1-line block ×4, first 2 shown]
	v_and_or_b32 v7, v6, s15, v7
	v_cmp_lt_u64_e32 vcc, v[12:13], v[10:11]
	v_cndmask_b32_e32 v26, v6, v7, vcc
	v_perm_b32 v17, v16, v16, s16
	v_cndmask_b32_e32 v9, v13, v11, vcc
	v_cndmask_b32_e32 v8, v12, v10, vcc
	;; [unrolled: 1-line block ×4, first 2 shown]
	v_cmp_lt_u64_e32 vcc, v[14:15], v[18:19]
	v_cndmask_b32_e32 v16, v16, v17, vcc
	v_cndmask_b32_e32 v13, v15, v19, vcc
	;; [unrolled: 1-line block ×5, first 2 shown]
	v_perm_b32 v14, v16, v16, s17
	v_cmp_lt_u64_e32 vcc, v[24:25], v[20:21]
	v_cndmask_b32_e32 v27, v16, v14, vcc
	v_cndmask_b32_e32 v17, v25, v21, vcc
	;; [unrolled: 1-line block ×5, first 2 shown]
	global_store_dwordx4 v1, v[2:5], s[10:11]
	global_store_dwordx4 v1, v[6:9], s[10:11] offset:16
	global_store_dwordx4 v1, v[10:13], s[10:11] offset:32
	;; [unrolled: 1-line block ×3, first 2 shown]
	global_store_dwordx2 v1, v[22:23], s[10:11] offset:64
	global_store_byte v0, v28, s[12:13] offset:8
	global_store_dwordx2 v0, v[26:27], s[12:13]
	s_endpgm
	.section	.rodata,"a",@progbits
	.p2align	6, 0x0
	.amdhsa_kernel _Z16sort_keys_valuesILj256ELj9EycN10test_utils4lessEEvPT1_PT2_T3_
		.amdhsa_group_segment_fixed_size 0
		.amdhsa_private_segment_fixed_size 0
		.amdhsa_kernarg_size 20
		.amdhsa_user_sgpr_count 6
		.amdhsa_user_sgpr_private_segment_buffer 1
		.amdhsa_user_sgpr_dispatch_ptr 0
		.amdhsa_user_sgpr_queue_ptr 0
		.amdhsa_user_sgpr_kernarg_segment_ptr 1
		.amdhsa_user_sgpr_dispatch_id 0
		.amdhsa_user_sgpr_flat_scratch_init 0
		.amdhsa_user_sgpr_kernarg_preload_length 0
		.amdhsa_user_sgpr_kernarg_preload_offset 0
		.amdhsa_user_sgpr_private_segment_size 0
		.amdhsa_uses_dynamic_stack 0
		.amdhsa_system_sgpr_private_segment_wavefront_offset 0
		.amdhsa_system_sgpr_workgroup_id_x 1
		.amdhsa_system_sgpr_workgroup_id_y 0
		.amdhsa_system_sgpr_workgroup_id_z 0
		.amdhsa_system_sgpr_workgroup_info 0
		.amdhsa_system_vgpr_workitem_id 0
		.amdhsa_next_free_vgpr 32
		.amdhsa_next_free_sgpr 22
		.amdhsa_accum_offset 32
		.amdhsa_reserve_vcc 1
		.amdhsa_reserve_flat_scratch 0
		.amdhsa_float_round_mode_32 0
		.amdhsa_float_round_mode_16_64 0
		.amdhsa_float_denorm_mode_32 3
		.amdhsa_float_denorm_mode_16_64 3
		.amdhsa_dx10_clamp 1
		.amdhsa_ieee_mode 1
		.amdhsa_fp16_overflow 0
		.amdhsa_tg_split 0
		.amdhsa_exception_fp_ieee_invalid_op 0
		.amdhsa_exception_fp_denorm_src 0
		.amdhsa_exception_fp_ieee_div_zero 0
		.amdhsa_exception_fp_ieee_overflow 0
		.amdhsa_exception_fp_ieee_underflow 0
		.amdhsa_exception_fp_ieee_inexact 0
		.amdhsa_exception_int_div_zero 0
	.end_amdhsa_kernel
	.section	.text._Z16sort_keys_valuesILj256ELj9EycN10test_utils4lessEEvPT1_PT2_T3_,"axG",@progbits,_Z16sort_keys_valuesILj256ELj9EycN10test_utils4lessEEvPT1_PT2_T3_,comdat
.Lfunc_end20:
	.size	_Z16sort_keys_valuesILj256ELj9EycN10test_utils4lessEEvPT1_PT2_T3_, .Lfunc_end20-_Z16sort_keys_valuesILj256ELj9EycN10test_utils4lessEEvPT1_PT2_T3_
                                        ; -- End function
	.section	.AMDGPU.csdata,"",@progbits
; Kernel info:
; codeLenInByte = 2288
; NumSgprs: 26
; NumVgprs: 32
; NumAgprs: 0
; TotalNumVgprs: 32
; ScratchSize: 0
; MemoryBound: 0
; FloatMode: 240
; IeeeMode: 1
; LDSByteSize: 0 bytes/workgroup (compile time only)
; SGPRBlocks: 3
; VGPRBlocks: 3
; NumSGPRsForWavesPerEU: 26
; NumVGPRsForWavesPerEU: 32
; AccumOffset: 32
; Occupancy: 8
; WaveLimiterHint : 0
; COMPUTE_PGM_RSRC2:SCRATCH_EN: 0
; COMPUTE_PGM_RSRC2:USER_SGPR: 6
; COMPUTE_PGM_RSRC2:TRAP_HANDLER: 0
; COMPUTE_PGM_RSRC2:TGID_X_EN: 1
; COMPUTE_PGM_RSRC2:TGID_Y_EN: 0
; COMPUTE_PGM_RSRC2:TGID_Z_EN: 0
; COMPUTE_PGM_RSRC2:TIDIG_COMP_CNT: 0
; COMPUTE_PGM_RSRC3_GFX90A:ACCUM_OFFSET: 7
; COMPUTE_PGM_RSRC3_GFX90A:TG_SPLIT: 0
	.section	.text._Z16sort_keys_valuesILj256ELj8EtcN10test_utils4lessEEvPT1_PT2_T3_,"axG",@progbits,_Z16sort_keys_valuesILj256ELj8EtcN10test_utils4lessEEvPT1_PT2_T3_,comdat
	.protected	_Z16sort_keys_valuesILj256ELj8EtcN10test_utils4lessEEvPT1_PT2_T3_ ; -- Begin function _Z16sort_keys_valuesILj256ELj8EtcN10test_utils4lessEEvPT1_PT2_T3_
	.globl	_Z16sort_keys_valuesILj256ELj8EtcN10test_utils4lessEEvPT1_PT2_T3_
	.p2align	8
	.type	_Z16sort_keys_valuesILj256ELj8EtcN10test_utils4lessEEvPT1_PT2_T3_,@function
_Z16sort_keys_valuesILj256ELj8EtcN10test_utils4lessEEvPT1_PT2_T3_: ; @_Z16sort_keys_valuesILj256ELj8EtcN10test_utils4lessEEvPT1_PT2_T3_
; %bb.0:
	s_load_dwordx4 s[0:3], s[4:5], 0x0
	s_lshl_b32 s4, s6, 11
	s_mov_b32 s5, 0
	s_lshl_b64 s[6:7], s[4:5], 1
	v_lshlrev_b32_e32 v6, 4, v0
	s_waitcnt lgkmcnt(0)
	s_add_u32 s0, s0, s6
	s_addc_u32 s1, s1, s7
	s_add_u32 s2, s2, s4
	v_lshlrev_b32_e32 v7, 3, v0
	s_addc_u32 s3, s3, 0
	global_load_dwordx4 v[2:5], v6, s[0:1]
	global_load_dwordx2 v[0:1], v7, s[2:3]
	s_mov_b32 s13, 0x3020405
	s_mov_b32 s9, 0x7060405
	;; [unrolled: 1-line block ×7, first 2 shown]
	s_movk_i32 s12, 0xff
	s_mov_b32 s7, 0x7060302
	s_mov_b32 s11, 0x3020107
	;; [unrolled: 1-line block ×3, first 2 shown]
	s_waitcnt vmcnt(1)
	v_cmp_lt_u16_sdwa vcc, v2, v2 src0_sel:WORD_1 src1_sel:DWORD
	s_waitcnt vmcnt(0)
	v_perm_b32 v12, v0, v0, s13
	v_alignbit_b32 v8, v2, v2, 16
	v_cndmask_b32_e32 v0, v0, v12, vcc
	v_perm_b32 v13, v1, v1, s9
	v_cndmask_b32_e32 v2, v2, v8, vcc
	v_cmp_lt_u16_sdwa vcc, v4, v4 src0_sel:WORD_1 src1_sel:DWORD
	v_lshrrev_b32_e32 v8, 16, v0
	v_alignbit_b32 v10, v4, v4, 16
	v_cndmask_b32_e32 v1, v1, v13, vcc
	v_perm_b32 v8, 0, v8, s8
	v_alignbit_b32 v11, v5, v5, 16
	v_cndmask_b32_e32 v4, v4, v10, vcc
	v_perm_b32 v10, v1, v1, s10
	v_cmp_lt_u16_sdwa vcc, v5, v5 src0_sel:WORD_1 src1_sel:DWORD
	v_lshlrev_b32_e32 v8, 16, v8
	v_alignbit_b32 v9, v3, v3, 16
	v_cndmask_b32_e32 v1, v1, v10, vcc
	v_cndmask_b32_e32 v5, v5, v11, vcc
	v_and_or_b32 v8, v0, s4, v8
	v_cmp_lt_u16_sdwa vcc, v3, v3 src0_sel:WORD_1 src1_sel:DWORD
	v_cndmask_b32_e32 v0, v0, v8, vcc
	v_cndmask_b32_e32 v3, v3, v9, vcc
	v_perm_b32 v8, v0, v0, s5
	v_cmp_lt_u16_sdwa vcc, v3, v2 src0_sel:DWORD src1_sel:WORD_1
	v_perm_b32 v9, v3, v2, s6
	v_cndmask_b32_e32 v0, v0, v8, vcc
	v_lshlrev_b16_e32 v10, 8, v1
	v_perm_b32 v11, v3, v2, s7
	v_cndmask_b32_e32 v2, v2, v9, vcc
	v_and_b32_sdwa v9, v0, s12 dst_sel:DWORD dst_unused:UNUSED_PAD src0_sel:WORD_1 src1_sel:DWORD
	v_cndmask_b32_e32 v3, v3, v11, vcc
	v_or_b32_sdwa v9, v9, v10 dst_sel:WORD_1 dst_unused:UNUSED_PAD src0_sel:DWORD src1_sel:DWORD
	v_perm_b32 v8, v0, v1, s11
	v_perm_b32 v11, v4, v3, s7
	v_and_or_b32 v9, v0, s4, v9
	v_cmp_lt_u16_sdwa vcc, v4, v3 src0_sel:DWORD src1_sel:WORD_1
	v_perm_b32 v12, v4, v3, s6
	v_cndmask_b32_e32 v0, v0, v9, vcc
	v_cndmask_b32_e32 v1, v1, v8, vcc
	;; [unrolled: 1-line block ×4, first 2 shown]
	v_perm_b32 v8, v5, v4, s7
	v_perm_b32 v9, v5, v4, s6
	;; [unrolled: 1-line block ×4, first 2 shown]
	v_cmp_lt_u16_sdwa vcc, v5, v4 src0_sel:DWORD src1_sel:WORD_1
	v_and_or_b32 v11, v0, s14, v11
	v_cndmask_b32_e32 v1, v1, v10, vcc
	v_cndmask_b32_e32 v4, v4, v9, vcc
	;; [unrolled: 1-line block ×3, first 2 shown]
	v_cmp_lt_u16_sdwa vcc, v2, v2 src0_sel:WORD_1 src1_sel:DWORD
	v_alignbit_b32 v13, v2, v2, 16
	v_cndmask_b32_e32 v0, v0, v11, vcc
	v_cndmask_b32_e32 v2, v2, v13, vcc
	v_perm_b32 v8, v1, v1, s9
	v_lshrrev_b32_e32 v11, 16, v0
	v_cmp_lt_u16_sdwa vcc, v4, v4 src0_sel:WORD_1 src1_sel:DWORD
	v_alignbit_b32 v9, v4, v4, 16
	v_cndmask_b32_e32 v1, v1, v8, vcc
	v_perm_b32 v8, 0, v11, s8
	v_alignbit_b32 v10, v5, v5, 16
	v_cndmask_b32_e32 v4, v4, v9, vcc
	v_perm_b32 v9, v1, v1, s10
	v_lshlrev_b32_e32 v8, 16, v8
	v_cmp_lt_u16_sdwa vcc, v5, v5 src0_sel:WORD_1 src1_sel:DWORD
	v_alignbit_b32 v12, v3, v3, 16
	v_cndmask_b32_e32 v1, v1, v9, vcc
	v_cndmask_b32_e32 v5, v5, v10, vcc
	v_and_or_b32 v8, v0, s4, v8
	v_cmp_lt_u16_sdwa vcc, v3, v3 src0_sel:WORD_1 src1_sel:DWORD
	v_cndmask_b32_e32 v0, v0, v8, vcc
	v_cndmask_b32_e32 v3, v3, v12, vcc
	v_perm_b32 v8, v0, v0, s5
	v_cmp_lt_u16_sdwa vcc, v3, v2 src0_sel:DWORD src1_sel:WORD_1
	v_perm_b32 v10, v3, v2, s7
	v_cndmask_b32_e32 v0, v0, v8, vcc
	v_lshlrev_b16_e32 v9, 8, v1
	v_perm_b32 v11, v3, v2, s6
	v_cndmask_b32_e32 v3, v3, v10, vcc
	v_and_b32_sdwa v10, v0, s12 dst_sel:DWORD dst_unused:UNUSED_PAD src0_sel:WORD_1 src1_sel:DWORD
	v_or_b32_sdwa v9, v10, v9 dst_sel:WORD_1 dst_unused:UNUSED_PAD src0_sel:DWORD src1_sel:DWORD
	v_cndmask_b32_e32 v2, v2, v11, vcc
	v_perm_b32 v8, v0, v1, s11
	v_perm_b32 v11, v4, v3, s7
	v_and_or_b32 v9, v0, s4, v9
	v_cmp_lt_u16_sdwa vcc, v4, v3 src0_sel:DWORD src1_sel:WORD_1
	v_perm_b32 v12, v4, v3, s6
	v_cndmask_b32_e32 v0, v0, v9, vcc
	v_cndmask_b32_e32 v1, v1, v8, vcc
	;; [unrolled: 1-line block ×4, first 2 shown]
	v_perm_b32 v8, v5, v4, s7
	v_perm_b32 v9, v5, v4, s6
	;; [unrolled: 1-line block ×4, first 2 shown]
	v_cmp_lt_u16_sdwa vcc, v5, v4 src0_sel:DWORD src1_sel:WORD_1
	v_and_or_b32 v11, v0, s14, v11
	v_cndmask_b32_e32 v1, v1, v10, vcc
	v_cndmask_b32_e32 v4, v4, v9, vcc
	;; [unrolled: 1-line block ×3, first 2 shown]
	v_cmp_lt_u16_sdwa vcc, v2, v2 src0_sel:WORD_1 src1_sel:DWORD
	v_cndmask_b32_e32 v0, v0, v11, vcc
	v_lshrrev_b32_e32 v8, 16, v0
	v_perm_b32 v8, 0, v8, s8
	v_alignbit_b32 v9, v2, v2, 16
	v_lshlrev_b32_e32 v8, 16, v8
	v_cndmask_b32_e32 v2, v2, v9, vcc
	v_and_or_b32 v8, v0, s4, v8
	v_cmp_lt_u16_sdwa vcc, v3, v3 src0_sel:WORD_1 src1_sel:DWORD
	v_alignbit_b32 v9, v3, v3, 16
	v_cndmask_b32_e32 v0, v0, v8, vcc
	v_perm_b32 v8, v1, v1, s9
	v_cndmask_b32_e32 v3, v3, v9, vcc
	v_cmp_lt_u16_sdwa vcc, v4, v4 src0_sel:WORD_1 src1_sel:DWORD
	v_alignbit_b32 v9, v4, v4, 16
	v_cndmask_b32_e32 v1, v1, v8, vcc
	v_cndmask_b32_e32 v4, v4, v9, vcc
	v_alignbit_b32 v8, v5, v5, 16
	v_perm_b32 v9, v1, v1, s10
	v_cmp_lt_u16_sdwa vcc, v5, v5 src0_sel:WORD_1 src1_sel:DWORD
	v_cndmask_b32_e32 v1, v1, v9, vcc
	v_cndmask_b32_e32 v5, v5, v8, vcc
	v_perm_b32 v8, v0, v0, s5
	v_cmp_lt_u16_sdwa vcc, v3, v2 src0_sel:DWORD src1_sel:WORD_1
	v_cndmask_b32_e32 v0, v0, v8, vcc
	v_and_b32_sdwa v9, v0, s12 dst_sel:DWORD dst_unused:UNUSED_PAD src0_sel:WORD_1 src1_sel:DWORD
	v_lshlrev_b16_e32 v10, 8, v1
	v_or_b32_sdwa v9, v9, v10 dst_sel:WORD_1 dst_unused:UNUSED_PAD src0_sel:DWORD src1_sel:DWORD
	v_perm_b32 v10, v3, v2, s7
	v_cndmask_b32_e32 v10, v3, v10, vcc
	v_perm_b32 v3, v3, v2, s6
	v_perm_b32 v8, v0, v1, s11
	v_cndmask_b32_e32 v2, v2, v3, vcc
	v_perm_b32 v3, v4, v10, s7
	v_and_or_b32 v9, v0, s4, v9
	v_cmp_lt_u16_sdwa vcc, v4, v10 src0_sel:DWORD src1_sel:WORD_1
	v_perm_b32 v11, v4, v10, s6
	v_cndmask_b32_e32 v0, v0, v9, vcc
	v_cndmask_b32_e32 v1, v1, v8, vcc
	;; [unrolled: 1-line block ×4, first 2 shown]
	v_perm_b32 v4, v5, v3, s7
	v_perm_b32 v9, v5, v3, s6
	v_perm_b32 v10, v1, v1, s5
	v_perm_b32 v11, 0, v0, s8
	v_cmp_lt_u16_sdwa vcc, v5, v3 src0_sel:DWORD src1_sel:WORD_1
	v_and_or_b32 v11, v0, s14, v11
	v_cndmask_b32_e32 v1, v1, v10, vcc
	v_cndmask_b32_e32 v3, v3, v9, vcc
	;; [unrolled: 1-line block ×3, first 2 shown]
	v_cmp_lt_u16_sdwa vcc, v2, v2 src0_sel:WORD_1 src1_sel:DWORD
	v_cndmask_b32_e32 v0, v0, v11, vcc
	v_lshrrev_b32_e32 v5, 16, v0
	v_perm_b32 v5, 0, v5, s8
	v_alignbit_b32 v9, v2, v2, 16
	v_lshlrev_b32_e32 v5, 16, v5
	v_cndmask_b32_e32 v2, v2, v9, vcc
	v_and_or_b32 v5, v0, s4, v5
	v_cmp_lt_u16_sdwa vcc, v8, v8 src0_sel:WORD_1 src1_sel:DWORD
	v_alignbit_b32 v9, v8, v8, 16
	v_cndmask_b32_e32 v0, v0, v5, vcc
	v_perm_b32 v5, v1, v1, s9
	v_cndmask_b32_e32 v8, v8, v9, vcc
	v_cmp_lt_u16_sdwa vcc, v3, v3 src0_sel:WORD_1 src1_sel:DWORD
	v_alignbit_b32 v9, v3, v3, 16
	v_cndmask_b32_e32 v1, v1, v5, vcc
	v_cndmask_b32_e32 v3, v3, v9, vcc
	v_alignbit_b32 v5, v4, v4, 16
	v_perm_b32 v9, v1, v1, s10
	v_cmp_lt_u16_sdwa vcc, v4, v4 src0_sel:WORD_1 src1_sel:DWORD
	v_cndmask_b32_e32 v1, v1, v9, vcc
	v_cndmask_b32_e32 v9, v4, v5, vcc
	v_perm_b32 v4, v0, v0, s5
	v_cmp_lt_u16_sdwa vcc, v8, v2 src0_sel:DWORD src1_sel:WORD_1
	v_cndmask_b32_e32 v4, v0, v4, vcc
	v_and_b32_sdwa v0, v4, s12 dst_sel:DWORD dst_unused:UNUSED_PAD src0_sel:WORD_1 src1_sel:DWORD
	v_lshlrev_b16_e32 v10, 8, v1
	v_or_b32_sdwa v10, v0, v10 dst_sel:WORD_1 dst_unused:UNUSED_PAD src0_sel:DWORD src1_sel:DWORD
	v_perm_b32 v0, v8, v2, s7
	v_cndmask_b32_e32 v11, v8, v0, vcc
	v_perm_b32 v0, v8, v2, s6
	v_cndmask_b32_e32 v0, v2, v0, vcc
	v_perm_b32 v2, v3, v11, s7
	v_cmp_lt_u16_sdwa vcc, v3, v11 src0_sel:DWORD src1_sel:WORD_1
	v_perm_b32 v5, v4, v1, s11
	v_perm_b32 v8, v3, v11, s6
	v_and_or_b32 v10, v4, s4, v10
	v_cndmask_b32_e32 v2, v3, v2, vcc
	v_cndmask_b32_e32 v4, v4, v10, vcc
	;; [unrolled: 1-line block ×4, first 2 shown]
	v_perm_b32 v3, v9, v2, s7
	v_perm_b32 v8, v9, v2, s6
	v_cmp_lt_u16_sdwa vcc, v9, v2 src0_sel:DWORD src1_sel:WORD_1
	v_perm_b32 v10, v5, v5, s5
	v_cndmask_b32_e32 v2, v2, v8, vcc
	v_cndmask_b32_e32 v3, v9, v3, vcc
	;; [unrolled: 1-line block ×3, first 2 shown]
	global_store_dwordx4 v6, v[0:3], s[0:1]
	global_store_dwordx2 v7, v[4:5], s[2:3]
	s_endpgm
	.section	.rodata,"a",@progbits
	.p2align	6, 0x0
	.amdhsa_kernel _Z16sort_keys_valuesILj256ELj8EtcN10test_utils4lessEEvPT1_PT2_T3_
		.amdhsa_group_segment_fixed_size 0
		.amdhsa_private_segment_fixed_size 0
		.amdhsa_kernarg_size 20
		.amdhsa_user_sgpr_count 6
		.amdhsa_user_sgpr_private_segment_buffer 1
		.amdhsa_user_sgpr_dispatch_ptr 0
		.amdhsa_user_sgpr_queue_ptr 0
		.amdhsa_user_sgpr_kernarg_segment_ptr 1
		.amdhsa_user_sgpr_dispatch_id 0
		.amdhsa_user_sgpr_flat_scratch_init 0
		.amdhsa_user_sgpr_kernarg_preload_length 0
		.amdhsa_user_sgpr_kernarg_preload_offset 0
		.amdhsa_user_sgpr_private_segment_size 0
		.amdhsa_uses_dynamic_stack 0
		.amdhsa_system_sgpr_private_segment_wavefront_offset 0
		.amdhsa_system_sgpr_workgroup_id_x 1
		.amdhsa_system_sgpr_workgroup_id_y 0
		.amdhsa_system_sgpr_workgroup_id_z 0
		.amdhsa_system_sgpr_workgroup_info 0
		.amdhsa_system_vgpr_workitem_id 0
		.amdhsa_next_free_vgpr 14
		.amdhsa_next_free_sgpr 15
		.amdhsa_accum_offset 16
		.amdhsa_reserve_vcc 1
		.amdhsa_reserve_flat_scratch 0
		.amdhsa_float_round_mode_32 0
		.amdhsa_float_round_mode_16_64 0
		.amdhsa_float_denorm_mode_32 3
		.amdhsa_float_denorm_mode_16_64 3
		.amdhsa_dx10_clamp 1
		.amdhsa_ieee_mode 1
		.amdhsa_fp16_overflow 0
		.amdhsa_tg_split 0
		.amdhsa_exception_fp_ieee_invalid_op 0
		.amdhsa_exception_fp_denorm_src 0
		.amdhsa_exception_fp_ieee_div_zero 0
		.amdhsa_exception_fp_ieee_overflow 0
		.amdhsa_exception_fp_ieee_underflow 0
		.amdhsa_exception_fp_ieee_inexact 0
		.amdhsa_exception_int_div_zero 0
	.end_amdhsa_kernel
	.section	.text._Z16sort_keys_valuesILj256ELj8EtcN10test_utils4lessEEvPT1_PT2_T3_,"axG",@progbits,_Z16sort_keys_valuesILj256ELj8EtcN10test_utils4lessEEvPT1_PT2_T3_,comdat
.Lfunc_end21:
	.size	_Z16sort_keys_valuesILj256ELj8EtcN10test_utils4lessEEvPT1_PT2_T3_, .Lfunc_end21-_Z16sort_keys_valuesILj256ELj8EtcN10test_utils4lessEEvPT1_PT2_T3_
                                        ; -- End function
	.section	.AMDGPU.csdata,"",@progbits
; Kernel info:
; codeLenInByte = 1432
; NumSgprs: 19
; NumVgprs: 14
; NumAgprs: 0
; TotalNumVgprs: 14
; ScratchSize: 0
; MemoryBound: 0
; FloatMode: 240
; IeeeMode: 1
; LDSByteSize: 0 bytes/workgroup (compile time only)
; SGPRBlocks: 2
; VGPRBlocks: 1
; NumSGPRsForWavesPerEU: 19
; NumVGPRsForWavesPerEU: 14
; AccumOffset: 16
; Occupancy: 8
; WaveLimiterHint : 0
; COMPUTE_PGM_RSRC2:SCRATCH_EN: 0
; COMPUTE_PGM_RSRC2:USER_SGPR: 6
; COMPUTE_PGM_RSRC2:TRAP_HANDLER: 0
; COMPUTE_PGM_RSRC2:TGID_X_EN: 1
; COMPUTE_PGM_RSRC2:TGID_Y_EN: 0
; COMPUTE_PGM_RSRC2:TGID_Z_EN: 0
; COMPUTE_PGM_RSRC2:TIDIG_COMP_CNT: 0
; COMPUTE_PGM_RSRC3_GFX90A:ACCUM_OFFSET: 3
; COMPUTE_PGM_RSRC3_GFX90A:TG_SPLIT: 0
	.section	.text._Z16sort_keys_valuesILj256ELj7EisN10test_utils4lessEEvPT1_PT2_T3_,"axG",@progbits,_Z16sort_keys_valuesILj256ELj7EisN10test_utils4lessEEvPT1_PT2_T3_,comdat
	.protected	_Z16sort_keys_valuesILj256ELj7EisN10test_utils4lessEEvPT1_PT2_T3_ ; -- Begin function _Z16sort_keys_valuesILj256ELj7EisN10test_utils4lessEEvPT1_PT2_T3_
	.globl	_Z16sort_keys_valuesILj256ELj7EisN10test_utils4lessEEvPT1_PT2_T3_
	.p2align	8
	.type	_Z16sort_keys_valuesILj256ELj7EisN10test_utils4lessEEvPT1_PT2_T3_,@function
_Z16sort_keys_valuesILj256ELj7EisN10test_utils4lessEEvPT1_PT2_T3_: ; @_Z16sort_keys_valuesILj256ELj7EisN10test_utils4lessEEvPT1_PT2_T3_
; %bb.0:
	s_load_dwordx4 s[0:3], s[4:5], 0x0
	s_mul_i32 s4, s6, 0x700
	s_mov_b32 s5, 0
	s_lshl_b64 s[6:7], s[4:5], 2
	v_mul_u32_u24_e32 v0, 7, v0
	s_waitcnt lgkmcnt(0)
	s_add_u32 s0, s0, s6
	s_addc_u32 s1, s1, s7
	s_lshl_b64 s[4:5], s[4:5], 1
	v_lshlrev_b32_e32 v17, 2, v0
	s_add_u32 s2, s2, s4
	global_load_dwordx3 v[6:8], v17, s[0:1] offset:16
	global_load_dwordx4 v[2:5], v17, s[0:1]
	s_addc_u32 s3, s3, s5
	v_lshlrev_b32_e32 v25, 1, v0
	global_load_dwordx3 v[26:28], v25, s[2:3]
	global_load_ushort v9, v25, s[2:3] offset:12
	s_waitcnt vmcnt(2)
	v_cmp_lt_i32_e32 vcc, v3, v2
	v_mov_b32_e32 v1, v2
	v_mov_b32_e32 v0, v3
	s_and_saveexec_b64 s[4:5], vcc
	s_cbranch_execz .LBB22_2
; %bb.1:
	v_mov_b32_e32 v10, v3
	v_mov_b32_e32 v11, v2
	;; [unrolled: 1-line block ×10, first 2 shown]
	s_waitcnt vmcnt(1)
	v_alignbit_b32 v26, v26, v26, 16
	v_mov_b32_e32 v3, v11
	v_mov_b32_e32 v4, v12
	;; [unrolled: 1-line block ×6, first 2 shown]
.LBB22_2:
	s_or_b64 exec, exec, s[4:5]
	v_mov_b32_e32 v16, v8
	v_cmp_lt_i32_e32 vcc, v5, v4
	v_mov_b32_e32 v15, v7
	v_mov_b32_e32 v14, v6
	v_mov_b32_e32 v13, v5
	v_mov_b32_e32 v12, v4
	v_mov_b32_e32 v11, v3
	v_mov_b32_e32 v10, v2
	v_mov_b32_e32 v29, v5
	s_and_saveexec_b64 s[4:5], vcc
	s_cbranch_execz .LBB22_4
; %bb.3:
	s_waitcnt vmcnt(1)
	v_alignbit_b32 v27, v27, v27, 16
	v_mov_b32_e32 v10, v2
	v_mov_b32_e32 v11, v3
	;; [unrolled: 1-line block ×9, first 2 shown]
.LBB22_4:
	s_or_b64 exec, exec, s[4:5]
	v_mov_b32_e32 v24, v16
	v_cmp_lt_i32_e32 vcc, v15, v14
	v_mov_b32_e32 v23, v15
	v_mov_b32_e32 v22, v14
	;; [unrolled: 1-line block ×7, first 2 shown]
	s_and_saveexec_b64 s[4:5], vcc
	s_cbranch_execz .LBB22_6
; %bb.5:
	s_waitcnt vmcnt(1)
	v_alignbit_b32 v28, v28, v28, 16
	v_mov_b32_e32 v18, v10
	v_mov_b32_e32 v19, v11
	;; [unrolled: 1-line block ×9, first 2 shown]
.LBB22_6:
	s_or_b64 exec, exec, s[4:5]
	v_cmp_lt_i32_e32 vcc, v4, v0
	v_mov_b32_e32 v11, v4
	s_and_saveexec_b64 s[4:5], vcc
	s_xor_b64 s[4:5], exec, s[4:5]
	s_cbranch_execz .LBB22_8
; %bb.7:
	s_mov_b32 s6, 0x5040100
	s_waitcnt vmcnt(1)
	v_perm_b32 v2, v27, v26, s6
	s_mov_b32 s6, 0x7060302
	v_perm_b32 v27, v27, v26, s6
	v_mov_b32_e32 v19, v4
	v_mov_b32_e32 v20, v0
	v_mov_b32_e32 v11, v0
	v_mov_b32_e32 v0, v4
	v_mov_b32_e32 v26, v2
.LBB22_8:
	s_or_b64 exec, exec, s[4:5]
	v_cmp_lt_i32_e32 vcc, v14, v29
	v_mov_b32_e32 v12, v14
	s_and_saveexec_b64 s[4:5], vcc
	s_cbranch_execz .LBB22_10
; %bb.9:
	s_mov_b32 s6, 0x5040100
	s_waitcnt vmcnt(1)
	v_perm_b32 v2, v28, v27, s6
	s_mov_b32 s6, 0x7060302
	v_perm_b32 v28, v28, v27, s6
	v_mov_b32_e32 v21, v14
	v_mov_b32_e32 v22, v29
	;; [unrolled: 1-line block ×5, first 2 shown]
.LBB22_10:
	s_or_b64 exec, exec, s[4:5]
	v_mov_b32_e32 v2, v18
	v_cmp_lt_i32_e32 vcc, v24, v30
	v_mov_b32_e32 v3, v19
	v_mov_b32_e32 v4, v20
	;; [unrolled: 1-line block ×7, first 2 shown]
	s_and_saveexec_b64 s[4:5], vcc
	s_cbranch_execz .LBB22_12
; %bb.11:
	s_mov_b32 s6, 0x5040100
	v_mov_b32_e32 v23, v24
	v_mov_b32_e32 v2, v18
	s_waitcnt vmcnt(0)
	v_perm_b32 v13, v9, v28, s6
	v_mov_b32_e32 v8, v24
	v_mov_b32_e32 v3, v19
	;; [unrolled: 1-line block ×7, first 2 shown]
	v_lshrrev_b32_e32 v9, 16, v28
	v_mov_b32_e32 v10, v30
	v_mov_b32_e32 v30, v24
	;; [unrolled: 1-line block ×3, first 2 shown]
.LBB22_12:
	s_or_b64 exec, exec, s[4:5]
	v_cmp_lt_i32_e32 vcc, v0, v1
	v_mov_b32_e32 v15, v1
	s_and_saveexec_b64 s[4:5], vcc
	s_cbranch_execz .LBB22_14
; %bb.13:
	v_mov_b32_e32 v2, v4
	v_mov_b32_e32 v3, v5
	;; [unrolled: 1-line block ×6, first 2 shown]
	s_waitcnt vmcnt(1)
	v_alignbit_b32 v26, v26, v26, 16
	v_mov_b32_e32 v7, v5
	v_mov_b32_e32 v6, v4
	;; [unrolled: 1-line block ×8, first 2 shown]
.LBB22_14:
	s_or_b64 exec, exec, s[4:5]
	v_cmp_lt_i32_e32 vcc, v29, v11
	v_mov_b32_e32 v16, v29
	s_and_saveexec_b64 s[4:5], vcc
	s_cbranch_execz .LBB22_16
; %bb.15:
	s_waitcnt vmcnt(1)
	v_alignbit_b32 v27, v27, v27, 16
	v_mov_b32_e32 v4, v29
	v_mov_b32_e32 v5, v11
	;; [unrolled: 1-line block ×4, first 2 shown]
.LBB22_16:
	s_or_b64 exec, exec, s[4:5]
	v_cmp_lt_i32_e32 vcc, v30, v12
	v_mov_b32_e32 v13, v30
	s_and_saveexec_b64 s[4:5], vcc
	s_cbranch_execz .LBB22_18
; %bb.17:
	s_waitcnt vmcnt(1)
	v_alignbit_b32 v28, v28, v28, 16
	v_mov_b32_e32 v6, v30
	v_mov_b32_e32 v7, v12
	;; [unrolled: 1-line block ×4, first 2 shown]
.LBB22_18:
	s_or_b64 exec, exec, s[4:5]
	v_cmp_lt_i32_e32 vcc, v11, v0
	v_mov_b32_e32 v14, v11
	s_and_saveexec_b64 s[4:5], vcc
	s_cbranch_execz .LBB22_20
; %bb.19:
	s_mov_b32 s6, 0x5040100
	s_waitcnt vmcnt(1)
	v_perm_b32 v1, v27, v26, s6
	s_mov_b32 s6, 0x7060302
	v_perm_b32 v27, v27, v26, s6
	v_mov_b32_e32 v3, v11
	v_mov_b32_e32 v4, v0
	;; [unrolled: 1-line block ×5, first 2 shown]
.LBB22_20:
	s_or_b64 exec, exec, s[4:5]
	v_cmp_lt_i32_e32 vcc, v12, v16
	v_mov_b32_e32 v1, v12
	s_and_saveexec_b64 s[4:5], vcc
	s_cbranch_execz .LBB22_22
; %bb.21:
	s_mov_b32 s6, 0x5040100
	s_waitcnt vmcnt(1)
	v_perm_b32 v11, v28, v27, s6
	s_mov_b32 s6, 0x7060302
	v_perm_b32 v28, v28, v27, s6
	v_mov_b32_e32 v5, v12
	v_mov_b32_e32 v6, v16
	;; [unrolled: 1-line block ×5, first 2 shown]
.LBB22_22:
	s_or_b64 exec, exec, s[4:5]
	v_cmp_lt_i32_e32 vcc, v10, v13
	v_mov_b32_e32 v18, v10
	s_and_saveexec_b64 s[4:5], vcc
	s_cbranch_execz .LBB22_24
; %bb.23:
	s_mov_b32 s6, 0x5040100
	s_waitcnt vmcnt(0)
	v_perm_b32 v11, v9, v28, s6
	v_mov_b32_e32 v7, v10
	v_mov_b32_e32 v8, v13
	v_lshrrev_b32_e32 v9, 16, v28
	v_mov_b32_e32 v18, v13
	v_mov_b32_e32 v13, v10
	;; [unrolled: 1-line block ×3, first 2 shown]
.LBB22_24:
	s_or_b64 exec, exec, s[4:5]
	v_cmp_lt_i32_e32 vcc, v0, v15
	v_mov_b32_e32 v19, v15
	s_and_saveexec_b64 s[4:5], vcc
	s_cbranch_execz .LBB22_26
; %bb.25:
	s_waitcnt vmcnt(1)
	v_alignbit_b32 v26, v26, v26, 16
	v_mov_b32_e32 v2, v0
	v_mov_b32_e32 v3, v15
	;; [unrolled: 1-line block ×4, first 2 shown]
.LBB22_26:
	s_or_b64 exec, exec, s[4:5]
	v_cmp_lt_i32_e32 vcc, v16, v14
	v_mov_b32_e32 v15, v16
	s_and_saveexec_b64 s[4:5], vcc
	s_cbranch_execz .LBB22_28
; %bb.27:
	s_waitcnt vmcnt(1)
	v_alignbit_b32 v27, v27, v27, 16
	v_mov_b32_e32 v4, v16
	v_mov_b32_e32 v5, v14
	;; [unrolled: 1-line block ×4, first 2 shown]
.LBB22_28:
	s_or_b64 exec, exec, s[4:5]
	v_mov_b32_e32 v10, s1
	v_mov_b32_e32 v11, s3
	v_cmp_lt_i32_e32 vcc, v13, v1
	v_mov_b32_e32 v16, v13
	s_and_saveexec_b64 s[4:5], vcc
	s_cbranch_execz .LBB22_30
; %bb.29:
	s_waitcnt vmcnt(1)
	v_alignbit_b32 v28, v28, v28, 16
	v_mov_b32_e32 v6, v13
	v_mov_b32_e32 v7, v1
	v_mov_b32_e32 v16, v1
	v_mov_b32_e32 v1, v13
.LBB22_30:
	s_or_b64 exec, exec, s[4:5]
	v_add_co_u32_e32 v12, vcc, s0, v17
	v_addc_co_u32_e32 v13, vcc, 0, v10, vcc
	v_add_co_u32_e32 v10, vcc, s2, v25
	v_addc_co_u32_e32 v11, vcc, 0, v11, vcc
	v_cmp_lt_i32_e32 vcc, v14, v0
	v_mov_b32_e32 v17, v14
	s_and_saveexec_b64 s[0:1], vcc
	s_cbranch_execz .LBB22_32
; %bb.31:
	s_mov_b32 s2, 0x5040100
	s_waitcnt vmcnt(1)
	v_perm_b32 v20, v27, v26, s2
	s_mov_b32 s2, 0x7060302
	v_perm_b32 v27, v27, v26, s2
	v_mov_b32_e32 v3, v14
	v_mov_b32_e32 v4, v0
	;; [unrolled: 1-line block ×5, first 2 shown]
.LBB22_32:
	s_or_b64 exec, exec, s[0:1]
	v_cmp_lt_i32_e32 vcc, v1, v15
	v_mov_b32_e32 v14, v1
	s_and_saveexec_b64 s[0:1], vcc
	s_cbranch_execz .LBB22_34
; %bb.33:
	s_mov_b32 s2, 0x5040100
	s_waitcnt vmcnt(1)
	v_perm_b32 v20, v28, v27, s2
	s_mov_b32 s2, 0x7060302
	v_perm_b32 v28, v28, v27, s2
	v_mov_b32_e32 v5, v1
	v_mov_b32_e32 v6, v15
	;; [unrolled: 1-line block ×5, first 2 shown]
.LBB22_34:
	s_or_b64 exec, exec, s[0:1]
	s_mov_b32 s0, 0x5040100
	s_waitcnt vmcnt(0)
	v_and_b32_e32 v1, 0xffff, v9
	v_perm_b32 v9, v9, v28, s0
	v_alignbit_b32 v20, s0, v28, 16
	v_cmp_lt_i32_e32 vcc, v18, v16
	v_cndmask_b32_e32 v8, v8, v16, vcc
	v_cndmask_b32_e32 v7, v7, v18, vcc
	v_cndmask_b32_e32 v20, v1, v20, vcc
	v_cndmask_b32_e32 v9, v28, v9, vcc
	v_cmp_lt_i32_e32 vcc, v0, v19
	v_cndmask_b32_e32 v0, v2, v0, vcc
	v_alignbit_b32 v2, v26, v26, 16
	v_min_i32_e32 v18, v18, v16
	v_cndmask_b32_e32 v1, v3, v19, vcc
	v_cndmask_b32_e32 v16, v26, v2, vcc
	v_cmp_lt_i32_e32 vcc, v15, v17
	v_cndmask_b32_e32 v2, v4, v15, vcc
	v_alignbit_b32 v4, v27, v27, 16
	v_cndmask_b32_e32 v3, v5, v17, vcc
	v_cndmask_b32_e32 v17, v27, v4, vcc
	v_alignbit_b32 v4, v9, v9, 16
	v_cmp_lt_i32_e32 vcc, v18, v14
	v_cndmask_b32_e32 v7, v7, v14, vcc
	v_cndmask_b32_e32 v6, v6, v18, vcc
	;; [unrolled: 1-line block ×3, first 2 shown]
	global_store_dwordx4 v[12:13], v[0:3], off
	global_store_dwordx3 v[12:13], v[6:8], off offset:16
	global_store_short v[10:11], v20, off offset:12
	global_store_dwordx3 v[10:11], v[16:18], off
	s_endpgm
	.section	.rodata,"a",@progbits
	.p2align	6, 0x0
	.amdhsa_kernel _Z16sort_keys_valuesILj256ELj7EisN10test_utils4lessEEvPT1_PT2_T3_
		.amdhsa_group_segment_fixed_size 0
		.amdhsa_private_segment_fixed_size 0
		.amdhsa_kernarg_size 20
		.amdhsa_user_sgpr_count 6
		.amdhsa_user_sgpr_private_segment_buffer 1
		.amdhsa_user_sgpr_dispatch_ptr 0
		.amdhsa_user_sgpr_queue_ptr 0
		.amdhsa_user_sgpr_kernarg_segment_ptr 1
		.amdhsa_user_sgpr_dispatch_id 0
		.amdhsa_user_sgpr_flat_scratch_init 0
		.amdhsa_user_sgpr_kernarg_preload_length 0
		.amdhsa_user_sgpr_kernarg_preload_offset 0
		.amdhsa_user_sgpr_private_segment_size 0
		.amdhsa_uses_dynamic_stack 0
		.amdhsa_system_sgpr_private_segment_wavefront_offset 0
		.amdhsa_system_sgpr_workgroup_id_x 1
		.amdhsa_system_sgpr_workgroup_id_y 0
		.amdhsa_system_sgpr_workgroup_id_z 0
		.amdhsa_system_sgpr_workgroup_info 0
		.amdhsa_system_vgpr_workitem_id 0
		.amdhsa_next_free_vgpr 31
		.amdhsa_next_free_sgpr 8
		.amdhsa_accum_offset 32
		.amdhsa_reserve_vcc 1
		.amdhsa_reserve_flat_scratch 0
		.amdhsa_float_round_mode_32 0
		.amdhsa_float_round_mode_16_64 0
		.amdhsa_float_denorm_mode_32 3
		.amdhsa_float_denorm_mode_16_64 3
		.amdhsa_dx10_clamp 1
		.amdhsa_ieee_mode 1
		.amdhsa_fp16_overflow 0
		.amdhsa_tg_split 0
		.amdhsa_exception_fp_ieee_invalid_op 0
		.amdhsa_exception_fp_denorm_src 0
		.amdhsa_exception_fp_ieee_div_zero 0
		.amdhsa_exception_fp_ieee_overflow 0
		.amdhsa_exception_fp_ieee_underflow 0
		.amdhsa_exception_fp_ieee_inexact 0
		.amdhsa_exception_int_div_zero 0
	.end_amdhsa_kernel
	.section	.text._Z16sort_keys_valuesILj256ELj7EisN10test_utils4lessEEvPT1_PT2_T3_,"axG",@progbits,_Z16sort_keys_valuesILj256ELj7EisN10test_utils4lessEEvPT1_PT2_T3_,comdat
.Lfunc_end22:
	.size	_Z16sort_keys_valuesILj256ELj7EisN10test_utils4lessEEvPT1_PT2_T3_, .Lfunc_end22-_Z16sort_keys_valuesILj256ELj7EisN10test_utils4lessEEvPT1_PT2_T3_
                                        ; -- End function
	.section	.AMDGPU.csdata,"",@progbits
; Kernel info:
; codeLenInByte = 1552
; NumSgprs: 12
; NumVgprs: 31
; NumAgprs: 0
; TotalNumVgprs: 31
; ScratchSize: 0
; MemoryBound: 0
; FloatMode: 240
; IeeeMode: 1
; LDSByteSize: 0 bytes/workgroup (compile time only)
; SGPRBlocks: 1
; VGPRBlocks: 3
; NumSGPRsForWavesPerEU: 12
; NumVGPRsForWavesPerEU: 31
; AccumOffset: 32
; Occupancy: 8
; WaveLimiterHint : 0
; COMPUTE_PGM_RSRC2:SCRATCH_EN: 0
; COMPUTE_PGM_RSRC2:USER_SGPR: 6
; COMPUTE_PGM_RSRC2:TRAP_HANDLER: 0
; COMPUTE_PGM_RSRC2:TGID_X_EN: 1
; COMPUTE_PGM_RSRC2:TGID_Y_EN: 0
; COMPUTE_PGM_RSRC2:TGID_Z_EN: 0
; COMPUTE_PGM_RSRC2:TIDIG_COMP_CNT: 0
; COMPUTE_PGM_RSRC3_GFX90A:ACCUM_OFFSET: 7
; COMPUTE_PGM_RSRC3_GFX90A:TG_SPLIT: 0
	.section	.text._Z16sort_keys_valuesILj256ELj6EfcN10test_utils7greaterEEvPT1_PT2_T3_,"axG",@progbits,_Z16sort_keys_valuesILj256ELj6EfcN10test_utils7greaterEEvPT1_PT2_T3_,comdat
	.protected	_Z16sort_keys_valuesILj256ELj6EfcN10test_utils7greaterEEvPT1_PT2_T3_ ; -- Begin function _Z16sort_keys_valuesILj256ELj6EfcN10test_utils7greaterEEvPT1_PT2_T3_
	.globl	_Z16sort_keys_valuesILj256ELj6EfcN10test_utils7greaterEEvPT1_PT2_T3_
	.p2align	8
	.type	_Z16sort_keys_valuesILj256ELj6EfcN10test_utils7greaterEEvPT1_PT2_T3_,@function
_Z16sort_keys_valuesILj256ELj6EfcN10test_utils7greaterEEvPT1_PT2_T3_: ; @_Z16sort_keys_valuesILj256ELj6EfcN10test_utils7greaterEEvPT1_PT2_T3_
; %bb.0:
	s_load_dwordx4 s[0:3], s[4:5], 0x0
	s_mul_i32 s4, s6, 0x600
	s_mov_b32 s5, 0
	s_lshl_b64 s[6:7], s[4:5], 2
	v_mul_u32_u24_e32 v6, 6, v0
	s_waitcnt lgkmcnt(0)
	s_add_u32 s0, s0, s6
	s_addc_u32 s1, s1, s7
	s_add_u32 s2, s2, s4
	s_addc_u32 s3, s3, 0
	global_load_dword v7, v6, s[2:3]
	global_load_ushort v8, v6, s[2:3] offset:4
	v_lshlrev_b32_e32 v9, 2, v6
	global_load_dwordx2 v[4:5], v9, s[0:1] offset:16
	global_load_dwordx4 v[0:3], v9, s[0:1]
	s_mov_b32 s7, 0xc0c0001
	s_mov_b32 s6, 0xffff0000
	;; [unrolled: 1-line block ×4, first 2 shown]
	s_movk_i32 s4, 0xff
	s_waitcnt vmcnt(3)
	v_lshrrev_b32_e32 v10, 8, v7
	v_lshlrev_b16_e32 v11, 8, v7
	v_or_b32_sdwa v10, v10, v11 dst_sel:DWORD dst_unused:UNUSED_PAD src0_sel:BYTE_0 src1_sel:DWORD
	s_waitcnt vmcnt(1)
	v_cmp_gt_f32_e32 vcc, v5, v4
	v_and_b32_e32 v12, 0xffff, v8
	v_perm_b32 v8, 0, v8, s7
	v_cndmask_b32_e32 v11, v5, v4, vcc
	v_cndmask_b32_e32 v4, v4, v5, vcc
	v_and_b32_e32 v5, 0xffff, v10
	v_cndmask_b32_e32 v8, v12, v8, vcc
	v_and_or_b32 v5, v7, s6, v5
	s_waitcnt vmcnt(0)
	v_cmp_gt_f32_e32 vcc, v1, v0
	v_cndmask_b32_e32 v5, v7, v5, vcc
	v_cndmask_b32_e32 v7, v0, v1, vcc
	;; [unrolled: 1-line block ×3, first 2 shown]
	v_lshrrev_b32_e32 v1, 16, v5
	v_perm_b32 v1, 0, v1, s7
	v_lshlrev_b32_e32 v1, 16, v1
	v_and_or_b32 v1, v5, s5, v1
	v_cmp_gt_f32_e32 vcc, v3, v2
	v_cndmask_b32_e32 v1, v5, v1, vcc
	v_cndmask_b32_e32 v5, v3, v2, vcc
	;; [unrolled: 1-line block ×3, first 2 shown]
	v_perm_b32 v3, v1, v1, s8
	v_cmp_gt_f32_e32 vcc, v2, v0
	v_and_b32_e32 v10, 0xffffff00, v8
	v_cndmask_b32_e32 v1, v1, v3, vcc
	v_lshlrev_b16_e32 v12, 8, v8
	v_cndmask_b32_e32 v3, v2, v0, vcc
	v_cndmask_b32_e32 v0, v0, v2, vcc
	v_or_b32_sdwa v2, v1, v10 dst_sel:DWORD dst_unused:UNUSED_PAD src0_sel:BYTE_3 src1_sel:DWORD
	v_and_b32_sdwa v10, v1, s4 dst_sel:DWORD dst_unused:UNUSED_PAD src0_sel:WORD_1 src1_sel:DWORD
	v_or_b32_sdwa v10, v10, v12 dst_sel:WORD_1 dst_unused:UNUSED_PAD src0_sel:DWORD src1_sel:DWORD
	v_and_b32_e32 v2, 0xffff, v2
	v_and_or_b32 v10, v1, s5, v10
	v_cmp_gt_f32_e32 vcc, v4, v5
	v_cndmask_b32_e32 v1, v1, v10, vcc
	v_cndmask_b32_e32 v2, v8, v2, vcc
	v_cndmask_b32_e32 v8, v4, v5, vcc
	v_cndmask_b32_e32 v4, v5, v4, vcc
	v_perm_b32 v5, 0, v1, s7
	v_perm_b32 v10, 0, v2, s7
	v_cmp_gt_f32_e32 vcc, v11, v8
	v_and_or_b32 v5, v1, s6, v5
	v_cndmask_b32_e32 v2, v2, v10, vcc
	v_cndmask_b32_e32 v10, v11, v8, vcc
	v_cndmask_b32_e32 v8, v8, v11, vcc
	v_cmp_gt_f32_e32 vcc, v0, v7
	v_cndmask_b32_e32 v1, v1, v5, vcc
	v_lshrrev_b32_e32 v12, 16, v1
	v_perm_b32 v12, 0, v12, s7
	v_lshlrev_b32_e32 v12, 16, v12
	v_cndmask_b32_e32 v11, v7, v0, vcc
	v_cndmask_b32_e32 v0, v0, v7, vcc
	v_and_or_b32 v12, v1, s5, v12
	v_cmp_gt_f32_e32 vcc, v4, v3
	v_cndmask_b32_e32 v1, v1, v12, vcc
	v_cndmask_b32_e32 v12, v4, v3, vcc
	;; [unrolled: 1-line block ×3, first 2 shown]
	v_perm_b32 v4, v1, v1, s8
	v_cmp_gt_f32_e32 vcc, v3, v0
	v_and_b32_e32 v5, 0xffffff00, v2
	v_cndmask_b32_e32 v1, v1, v4, vcc
	v_lshlrev_b16_e32 v7, 8, v2
	v_cndmask_b32_e32 v4, v3, v0, vcc
	v_cndmask_b32_e32 v3, v0, v3, vcc
	v_or_b32_sdwa v0, v1, v5 dst_sel:DWORD dst_unused:UNUSED_PAD src0_sel:BYTE_3 src1_sel:DWORD
	v_and_b32_sdwa v5, v1, s4 dst_sel:DWORD dst_unused:UNUSED_PAD src0_sel:WORD_1 src1_sel:DWORD
	v_or_b32_sdwa v5, v5, v7 dst_sel:WORD_1 dst_unused:UNUSED_PAD src0_sel:DWORD src1_sel:DWORD
	v_and_b32_e32 v0, 0xffff, v0
	v_and_or_b32 v5, v1, s5, v5
	v_cmp_gt_f32_e32 vcc, v8, v12
	v_cndmask_b32_e32 v1, v1, v5, vcc
	v_cndmask_b32_e32 v0, v2, v0, vcc
	;; [unrolled: 1-line block ×4, first 2 shown]
	v_perm_b32 v5, 0, v1, s7
	v_perm_b32 v8, 0, v0, s7
	v_cmp_gt_f32_e32 vcc, v10, v2
	v_and_or_b32 v12, v1, s6, v5
	v_cndmask_b32_e32 v8, v0, v8, vcc
	v_cndmask_b32_e32 v5, v10, v2, vcc
	;; [unrolled: 1-line block ×3, first 2 shown]
	v_cmp_gt_f32_e32 vcc, v3, v11
	v_cndmask_b32_e32 v1, v1, v12, vcc
	v_lshrrev_b32_e32 v2, 16, v1
	v_perm_b32 v2, 0, v2, s7
	v_lshlrev_b32_e32 v2, 16, v2
	v_cndmask_b32_e32 v0, v11, v3, vcc
	v_cndmask_b32_e32 v3, v3, v11, vcc
	v_and_or_b32 v2, v1, s5, v2
	v_cmp_gt_f32_e32 vcc, v7, v4
	v_cndmask_b32_e32 v1, v1, v2, vcc
	v_cndmask_b32_e32 v13, v7, v4, vcc
	;; [unrolled: 1-line block ×3, first 2 shown]
	v_perm_b32 v2, v1, v1, s8
	v_cmp_gt_f32_e32 vcc, v4, v3
	v_and_b32_e32 v11, 0xffffff00, v8
	v_cndmask_b32_e32 v7, v1, v2, vcc
	v_lshlrev_b16_e32 v12, 8, v8
	v_cndmask_b32_e32 v2, v4, v3, vcc
	v_cndmask_b32_e32 v1, v3, v4, vcc
	v_or_b32_sdwa v3, v7, v11 dst_sel:DWORD dst_unused:UNUSED_PAD src0_sel:BYTE_3 src1_sel:DWORD
	v_and_b32_sdwa v4, v7, s4 dst_sel:DWORD dst_unused:UNUSED_PAD src0_sel:WORD_1 src1_sel:DWORD
	v_or_b32_sdwa v4, v4, v12 dst_sel:WORD_1 dst_unused:UNUSED_PAD src0_sel:DWORD src1_sel:DWORD
	v_and_b32_e32 v3, 0xffff, v3
	v_cmp_gt_f32_e32 vcc, v10, v13
	v_and_or_b32 v4, v7, s5, v4
	v_cndmask_b32_e32 v8, v8, v3, vcc
	v_cndmask_b32_e32 v3, v13, v10, vcc
	;; [unrolled: 1-line block ×4, first 2 shown]
	global_store_dwordx4 v9, v[0:3], s[0:1]
	global_store_dwordx2 v9, v[4:5], s[0:1] offset:16
	global_store_short v6, v8, s[2:3] offset:4
	global_store_dword v6, v7, s[2:3]
	s_endpgm
	.section	.rodata,"a",@progbits
	.p2align	6, 0x0
	.amdhsa_kernel _Z16sort_keys_valuesILj256ELj6EfcN10test_utils7greaterEEvPT1_PT2_T3_
		.amdhsa_group_segment_fixed_size 0
		.amdhsa_private_segment_fixed_size 0
		.amdhsa_kernarg_size 20
		.amdhsa_user_sgpr_count 6
		.amdhsa_user_sgpr_private_segment_buffer 1
		.amdhsa_user_sgpr_dispatch_ptr 0
		.amdhsa_user_sgpr_queue_ptr 0
		.amdhsa_user_sgpr_kernarg_segment_ptr 1
		.amdhsa_user_sgpr_dispatch_id 0
		.amdhsa_user_sgpr_flat_scratch_init 0
		.amdhsa_user_sgpr_kernarg_preload_length 0
		.amdhsa_user_sgpr_kernarg_preload_offset 0
		.amdhsa_user_sgpr_private_segment_size 0
		.amdhsa_uses_dynamic_stack 0
		.amdhsa_system_sgpr_private_segment_wavefront_offset 0
		.amdhsa_system_sgpr_workgroup_id_x 1
		.amdhsa_system_sgpr_workgroup_id_y 0
		.amdhsa_system_sgpr_workgroup_id_z 0
		.amdhsa_system_sgpr_workgroup_info 0
		.amdhsa_system_vgpr_workitem_id 0
		.amdhsa_next_free_vgpr 14
		.amdhsa_next_free_sgpr 9
		.amdhsa_accum_offset 16
		.amdhsa_reserve_vcc 1
		.amdhsa_reserve_flat_scratch 0
		.amdhsa_float_round_mode_32 0
		.amdhsa_float_round_mode_16_64 0
		.amdhsa_float_denorm_mode_32 3
		.amdhsa_float_denorm_mode_16_64 3
		.amdhsa_dx10_clamp 1
		.amdhsa_ieee_mode 1
		.amdhsa_fp16_overflow 0
		.amdhsa_tg_split 0
		.amdhsa_exception_fp_ieee_invalid_op 0
		.amdhsa_exception_fp_denorm_src 0
		.amdhsa_exception_fp_ieee_div_zero 0
		.amdhsa_exception_fp_ieee_overflow 0
		.amdhsa_exception_fp_ieee_underflow 0
		.amdhsa_exception_fp_ieee_inexact 0
		.amdhsa_exception_int_div_zero 0
	.end_amdhsa_kernel
	.section	.text._Z16sort_keys_valuesILj256ELj6EfcN10test_utils7greaterEEvPT1_PT2_T3_,"axG",@progbits,_Z16sort_keys_valuesILj256ELj6EfcN10test_utils7greaterEEvPT1_PT2_T3_,comdat
.Lfunc_end23:
	.size	_Z16sort_keys_valuesILj256ELj6EfcN10test_utils7greaterEEvPT1_PT2_T3_, .Lfunc_end23-_Z16sort_keys_valuesILj256ELj6EfcN10test_utils7greaterEEvPT1_PT2_T3_
                                        ; -- End function
	.section	.AMDGPU.csdata,"",@progbits
; Kernel info:
; codeLenInByte = 768
; NumSgprs: 13
; NumVgprs: 14
; NumAgprs: 0
; TotalNumVgprs: 14
; ScratchSize: 0
; MemoryBound: 0
; FloatMode: 240
; IeeeMode: 1
; LDSByteSize: 0 bytes/workgroup (compile time only)
; SGPRBlocks: 1
; VGPRBlocks: 1
; NumSGPRsForWavesPerEU: 13
; NumVGPRsForWavesPerEU: 14
; AccumOffset: 16
; Occupancy: 8
; WaveLimiterHint : 0
; COMPUTE_PGM_RSRC2:SCRATCH_EN: 0
; COMPUTE_PGM_RSRC2:USER_SGPR: 6
; COMPUTE_PGM_RSRC2:TRAP_HANDLER: 0
; COMPUTE_PGM_RSRC2:TGID_X_EN: 1
; COMPUTE_PGM_RSRC2:TGID_Y_EN: 0
; COMPUTE_PGM_RSRC2:TGID_Z_EN: 0
; COMPUTE_PGM_RSRC2:TIDIG_COMP_CNT: 0
; COMPUTE_PGM_RSRC3_GFX90A:ACCUM_OFFSET: 3
; COMPUTE_PGM_RSRC3_GFX90A:TG_SPLIT: 0
	.section	.text._Z16sort_keys_valuesILj256ELj5EtcN10test_utils4lessEEvPT1_PT2_T3_,"axG",@progbits,_Z16sort_keys_valuesILj256ELj5EtcN10test_utils4lessEEvPT1_PT2_T3_,comdat
	.protected	_Z16sort_keys_valuesILj256ELj5EtcN10test_utils4lessEEvPT1_PT2_T3_ ; -- Begin function _Z16sort_keys_valuesILj256ELj5EtcN10test_utils4lessEEvPT1_PT2_T3_
	.globl	_Z16sort_keys_valuesILj256ELj5EtcN10test_utils4lessEEvPT1_PT2_T3_
	.p2align	8
	.type	_Z16sort_keys_valuesILj256ELj5EtcN10test_utils4lessEEvPT1_PT2_T3_,@function
_Z16sort_keys_valuesILj256ELj5EtcN10test_utils4lessEEvPT1_PT2_T3_: ; @_Z16sort_keys_valuesILj256ELj5EtcN10test_utils4lessEEvPT1_PT2_T3_
; %bb.0:
	s_load_dwordx4 s[0:3], s[4:5], 0x0
	s_mul_i32 s4, s6, 0x500
	s_mov_b32 s5, 0
	s_lshl_b64 s[6:7], s[4:5], 1
	v_mul_u32_u24_e32 v4, 5, v0
	s_waitcnt lgkmcnt(0)
	s_add_u32 s0, s0, s6
	s_addc_u32 s1, s1, s7
	s_add_u32 s2, s2, s4
	v_lshlrev_b32_e32 v5, 1, v4
	s_addc_u32 s3, s3, 0
	global_load_ushort v2, v5, s[0:1] offset:8
	global_load_dwordx2 v[0:1], v5, s[0:1]
	global_load_ubyte v3, v4, s[2:3] offset:4
	global_load_dword v6, v4, s[2:3]
	v_mov_b32_e32 v7, 0x3020104
	s_mov_b32 s4, 0x7060405
	s_mov_b32 s5, 0xc0c0001
	;; [unrolled: 1-line block ×5, first 2 shown]
	s_movk_i32 s9, 0xff
	s_mov_b32 s7, 0x5040100
	s_mov_b32 s11, 0xffff0000
	s_waitcnt vmcnt(3)
	v_and_b32_e32 v8, 0xffff, v2
	s_waitcnt vmcnt(1)
	v_perm_b32 v3, v3, 0, v7
	s_waitcnt vmcnt(0)
	v_perm_b32 v7, v6, v6, s4
	v_cmp_lt_u16_sdwa vcc, v0, v0 src0_sel:WORD_1 src1_sel:DWORD
	v_alignbit_b32 v9, v0, v0, 16
	v_cndmask_b32_e32 v6, v6, v7, vcc
	v_cndmask_b32_e32 v0, v0, v9, vcc
	v_lshrrev_b32_e32 v9, 16, v6
	v_perm_b32 v9, 0, v9, s5
	v_lshlrev_b32_e32 v9, 16, v9
	v_and_or_b32 v9, v6, s6, v9
	v_cmp_lt_u16_sdwa vcc, v1, v1 src0_sel:WORD_1 src1_sel:DWORD
	v_alignbit_b32 v10, v1, v1, 16
	v_min_u16_sdwa v11, v1, v1 dst_sel:DWORD dst_unused:UNUSED_PAD src0_sel:WORD_1 src1_sel:DWORD
	v_cndmask_b32_e32 v6, v6, v9, vcc
	v_cndmask_b32_e32 v1, v1, v10, vcc
	v_perm_b32 v9, v6, v6, s8
	v_cmp_lt_u16_sdwa vcc, v11, v0 src0_sel:DWORD src1_sel:WORD_1
	v_perm_b32 v10, v1, v0, s10
	v_cndmask_b32_e32 v6, v6, v9, vcc
	v_lshlrev_b16_e32 v7, 8, v3
	v_cndmask_b32_e32 v1, v1, v10, vcc
	v_and_b32_sdwa v10, v6, s9 dst_sel:DWORD dst_unused:UNUSED_PAD src0_sel:WORD_1 src1_sel:DWORD
	v_perm_b32 v12, v11, v0, s7
	v_or_b32_sdwa v7, v10, v7 dst_sel:WORD_1 dst_unused:UNUSED_PAD src0_sel:DWORD src1_sel:DWORD
	v_cndmask_b32_e32 v0, v0, v12, vcc
	v_and_or_b32 v7, v6, s6, v7
	v_cmp_lt_u16_sdwa vcc, v2, v1 src0_sel:DWORD src1_sel:WORD_1
	v_lshrrev_b32_e32 v9, 24, v6
	v_perm_b32 v12, v2, v1, s7
	v_cndmask_b32_e32 v2, v6, v7, vcc
	v_alignbit_b32 v11, s0, v1, 16
	v_cndmask_b32_e32 v6, v3, v9, vcc
	v_perm_b32 v3, 0, v2, s5
	v_cndmask_b32_e32 v1, v1, v12, vcc
	v_cndmask_b32_e32 v7, v8, v11, vcc
	v_and_or_b32 v3, v2, s11, v3
	v_cmp_lt_u16_sdwa vcc, v0, v0 src0_sel:WORD_1 src1_sel:DWORD
	v_alignbit_b32 v13, v0, v0, 16
	v_cndmask_b32_e32 v2, v2, v3, vcc
	v_cndmask_b32_e32 v3, v0, v13, vcc
	v_lshrrev_b32_e32 v0, 16, v2
	v_perm_b32 v0, 0, v0, s5
	v_lshlrev_b32_e32 v0, 16, v0
	v_and_or_b32 v0, v2, s6, v0
	v_cmp_lt_u16_sdwa vcc, v1, v1 src0_sel:WORD_1 src1_sel:DWORD
	v_alignbit_b32 v8, v1, v1, 16
	v_min_u16_sdwa v9, v1, v1 dst_sel:DWORD dst_unused:UNUSED_PAD src0_sel:WORD_1 src1_sel:DWORD
	v_cndmask_b32_e32 v0, v2, v0, vcc
	v_cndmask_b32_e32 v1, v1, v8, vcc
	v_perm_b32 v2, v0, v0, s8
	v_cmp_lt_u16_sdwa vcc, v9, v3 src0_sel:DWORD src1_sel:WORD_1
	v_cndmask_b32_e32 v0, v0, v2, vcc
	v_lshlrev_b16_e32 v10, 8, v6
	v_perm_b32 v11, v9, v3, s7
	v_perm_b32 v8, v1, v3, s10
	v_and_b32_sdwa v9, v0, s9 dst_sel:DWORD dst_unused:UNUSED_PAD src0_sel:WORD_1 src1_sel:DWORD
	v_cndmask_b32_e32 v1, v1, v8, vcc
	v_or_b32_sdwa v9, v9, v10 dst_sel:WORD_1 dst_unused:UNUSED_PAD src0_sel:DWORD src1_sel:DWORD
	v_cndmask_b32_e32 v8, v3, v11, vcc
	v_and_or_b32 v9, v0, s6, v9
	v_cmp_lt_u16_sdwa vcc, v7, v1 src0_sel:DWORD src1_sel:WORD_1
	v_alignbit_b32 v11, s0, v1, 16
	v_lshlrev_b64 v[2:3], 8, v[0:1]
	v_cndmask_b32_e32 v0, v0, v9, vcc
	v_perm_b32 v12, v7, v1, s7
	v_cndmask_b32_e32 v3, v6, v3, vcc
	v_cndmask_b32_e32 v6, v7, v11, vcc
	v_perm_b32 v7, 0, v0, s5
	v_cndmask_b32_e32 v1, v1, v12, vcc
	global_store_short v5, v6, s[0:1] offset:8
	v_and_or_b32 v6, v0, s11, v7
	v_cmp_lt_u16_sdwa vcc, v8, v8 src0_sel:WORD_1 src1_sel:DWORD
	v_alignbit_b32 v2, v8, v8, 16
	v_cndmask_b32_e32 v6, v0, v6, vcc
	v_cndmask_b32_e32 v0, v8, v2, vcc
	v_lshrrev_b32_e32 v2, 16, v6
	v_perm_b32 v2, 0, v2, s5
	v_alignbit_b32 v9, v1, v1, 16
	v_lshlrev_b32_e32 v2, 16, v2
	v_cmp_lt_u16_sdwa vcc, v1, v1 src0_sel:WORD_1 src1_sel:DWORD
	v_and_or_b32 v2, v6, s6, v2
	v_cndmask_b32_e32 v1, v1, v9, vcc
	v_cndmask_b32_e32 v2, v6, v2, vcc
	global_store_dwordx2 v5, v[0:1], s[0:1]
	global_store_byte v4, v3, s[2:3] offset:4
	global_store_dword v4, v2, s[2:3]
	s_endpgm
	.section	.rodata,"a",@progbits
	.p2align	6, 0x0
	.amdhsa_kernel _Z16sort_keys_valuesILj256ELj5EtcN10test_utils4lessEEvPT1_PT2_T3_
		.amdhsa_group_segment_fixed_size 0
		.amdhsa_private_segment_fixed_size 0
		.amdhsa_kernarg_size 20
		.amdhsa_user_sgpr_count 6
		.amdhsa_user_sgpr_private_segment_buffer 1
		.amdhsa_user_sgpr_dispatch_ptr 0
		.amdhsa_user_sgpr_queue_ptr 0
		.amdhsa_user_sgpr_kernarg_segment_ptr 1
		.amdhsa_user_sgpr_dispatch_id 0
		.amdhsa_user_sgpr_flat_scratch_init 0
		.amdhsa_user_sgpr_kernarg_preload_length 0
		.amdhsa_user_sgpr_kernarg_preload_offset 0
		.amdhsa_user_sgpr_private_segment_size 0
		.amdhsa_uses_dynamic_stack 0
		.amdhsa_system_sgpr_private_segment_wavefront_offset 0
		.amdhsa_system_sgpr_workgroup_id_x 1
		.amdhsa_system_sgpr_workgroup_id_y 0
		.amdhsa_system_sgpr_workgroup_id_z 0
		.amdhsa_system_sgpr_workgroup_info 0
		.amdhsa_system_vgpr_workitem_id 0
		.amdhsa_next_free_vgpr 14
		.amdhsa_next_free_sgpr 12
		.amdhsa_accum_offset 16
		.amdhsa_reserve_vcc 1
		.amdhsa_reserve_flat_scratch 0
		.amdhsa_float_round_mode_32 0
		.amdhsa_float_round_mode_16_64 0
		.amdhsa_float_denorm_mode_32 3
		.amdhsa_float_denorm_mode_16_64 3
		.amdhsa_dx10_clamp 1
		.amdhsa_ieee_mode 1
		.amdhsa_fp16_overflow 0
		.amdhsa_tg_split 0
		.amdhsa_exception_fp_ieee_invalid_op 0
		.amdhsa_exception_fp_denorm_src 0
		.amdhsa_exception_fp_ieee_div_zero 0
		.amdhsa_exception_fp_ieee_overflow 0
		.amdhsa_exception_fp_ieee_underflow 0
		.amdhsa_exception_fp_ieee_inexact 0
		.amdhsa_exception_int_div_zero 0
	.end_amdhsa_kernel
	.section	.text._Z16sort_keys_valuesILj256ELj5EtcN10test_utils4lessEEvPT1_PT2_T3_,"axG",@progbits,_Z16sort_keys_valuesILj256ELj5EtcN10test_utils4lessEEvPT1_PT2_T3_,comdat
.Lfunc_end24:
	.size	_Z16sort_keys_valuesILj256ELj5EtcN10test_utils4lessEEvPT1_PT2_T3_, .Lfunc_end24-_Z16sort_keys_valuesILj256ELj5EtcN10test_utils4lessEEvPT1_PT2_T3_
                                        ; -- End function
	.section	.AMDGPU.csdata,"",@progbits
; Kernel info:
; codeLenInByte = 724
; NumSgprs: 16
; NumVgprs: 14
; NumAgprs: 0
; TotalNumVgprs: 14
; ScratchSize: 0
; MemoryBound: 0
; FloatMode: 240
; IeeeMode: 1
; LDSByteSize: 0 bytes/workgroup (compile time only)
; SGPRBlocks: 1
; VGPRBlocks: 1
; NumSGPRsForWavesPerEU: 16
; NumVGPRsForWavesPerEU: 14
; AccumOffset: 16
; Occupancy: 8
; WaveLimiterHint : 0
; COMPUTE_PGM_RSRC2:SCRATCH_EN: 0
; COMPUTE_PGM_RSRC2:USER_SGPR: 6
; COMPUTE_PGM_RSRC2:TRAP_HANDLER: 0
; COMPUTE_PGM_RSRC2:TGID_X_EN: 1
; COMPUTE_PGM_RSRC2:TGID_Y_EN: 0
; COMPUTE_PGM_RSRC2:TGID_Z_EN: 0
; COMPUTE_PGM_RSRC2:TIDIG_COMP_CNT: 0
; COMPUTE_PGM_RSRC3_GFX90A:ACCUM_OFFSET: 3
; COMPUTE_PGM_RSRC3_GFX90A:TG_SPLIT: 0
	.section	.text._Z16sort_keys_valuesILj256ELj4EjiN10test_utils4lessEEvPT1_PT2_T3_,"axG",@progbits,_Z16sort_keys_valuesILj256ELj4EjiN10test_utils4lessEEvPT1_PT2_T3_,comdat
	.protected	_Z16sort_keys_valuesILj256ELj4EjiN10test_utils4lessEEvPT1_PT2_T3_ ; -- Begin function _Z16sort_keys_valuesILj256ELj4EjiN10test_utils4lessEEvPT1_PT2_T3_
	.globl	_Z16sort_keys_valuesILj256ELj4EjiN10test_utils4lessEEvPT1_PT2_T3_
	.p2align	8
	.type	_Z16sort_keys_valuesILj256ELj4EjiN10test_utils4lessEEvPT1_PT2_T3_,@function
_Z16sort_keys_valuesILj256ELj4EjiN10test_utils4lessEEvPT1_PT2_T3_: ; @_Z16sort_keys_valuesILj256ELj4EjiN10test_utils4lessEEvPT1_PT2_T3_
; %bb.0:
	s_load_dwordx4 s[0:3], s[4:5], 0x0
	s_lshl_b32 s4, s6, 10
	s_mov_b32 s5, 0
	s_lshl_b64 s[4:5], s[4:5], 2
	v_lshlrev_b32_e32 v8, 4, v0
	s_waitcnt lgkmcnt(0)
	s_add_u32 s0, s0, s4
	s_addc_u32 s1, s1, s5
	s_add_u32 s2, s2, s4
	global_load_dwordx4 v[0:3], v8, s[0:1]
	s_addc_u32 s3, s3, s5
	global_load_dwordx4 v[4:7], v8, s[2:3]
	s_waitcnt vmcnt(1)
	v_cmp_lt_u32_e32 vcc, v1, v0
	v_min_u32_e32 v9, v3, v2
	s_waitcnt vmcnt(0)
	v_cndmask_b32_e32 v10, v4, v5, vcc
	v_cndmask_b32_e32 v4, v5, v4, vcc
	;; [unrolled: 1-line block ×4, first 2 shown]
	v_cmp_lt_u32_e32 vcc, v3, v2
	v_cndmask_b32_e32 v1, v7, v6, vcc
	v_cndmask_b32_e32 v6, v6, v7, vcc
	v_cndmask_b32_e32 v11, v3, v2, vcc
	v_cndmask_b32_e32 v2, v2, v3, vcc
	v_cmp_lt_u32_e32 vcc, v9, v0
	v_min_u32_e32 v3, v9, v0
	v_cndmask_b32_e32 v7, v6, v4, vcc
	v_cndmask_b32_e32 v4, v4, v6, vcc
	;; [unrolled: 1-line block ×4, first 2 shown]
	v_cmp_lt_u32_e32 vcc, v3, v5
	v_cndmask_b32_e32 v0, v10, v4, vcc
	v_cndmask_b32_e32 v9, v4, v10, vcc
	;; [unrolled: 1-line block ×4, first 2 shown]
	v_cmp_lt_u32_e32 vcc, v11, v2
	v_min_u32_e32 v10, v11, v2
	v_cndmask_b32_e32 v3, v1, v7, vcc
	v_cndmask_b32_e32 v1, v7, v1, vcc
	;; [unrolled: 1-line block ×4, first 2 shown]
	v_cmp_lt_u32_e32 vcc, v10, v5
	v_cndmask_b32_e32 v6, v6, v5, vcc
	v_cndmask_b32_e32 v5, v5, v10, vcc
	;; [unrolled: 1-line block ×4, first 2 shown]
	global_store_dwordx4 v8, v[4:7], s[0:1]
	global_store_dwordx4 v8, v[0:3], s[2:3]
	s_endpgm
	.section	.rodata,"a",@progbits
	.p2align	6, 0x0
	.amdhsa_kernel _Z16sort_keys_valuesILj256ELj4EjiN10test_utils4lessEEvPT1_PT2_T3_
		.amdhsa_group_segment_fixed_size 0
		.amdhsa_private_segment_fixed_size 0
		.amdhsa_kernarg_size 20
		.amdhsa_user_sgpr_count 6
		.amdhsa_user_sgpr_private_segment_buffer 1
		.amdhsa_user_sgpr_dispatch_ptr 0
		.amdhsa_user_sgpr_queue_ptr 0
		.amdhsa_user_sgpr_kernarg_segment_ptr 1
		.amdhsa_user_sgpr_dispatch_id 0
		.amdhsa_user_sgpr_flat_scratch_init 0
		.amdhsa_user_sgpr_kernarg_preload_length 0
		.amdhsa_user_sgpr_kernarg_preload_offset 0
		.amdhsa_user_sgpr_private_segment_size 0
		.amdhsa_uses_dynamic_stack 0
		.amdhsa_system_sgpr_private_segment_wavefront_offset 0
		.amdhsa_system_sgpr_workgroup_id_x 1
		.amdhsa_system_sgpr_workgroup_id_y 0
		.amdhsa_system_sgpr_workgroup_id_z 0
		.amdhsa_system_sgpr_workgroup_info 0
		.amdhsa_system_vgpr_workitem_id 0
		.amdhsa_next_free_vgpr 12
		.amdhsa_next_free_sgpr 7
		.amdhsa_accum_offset 12
		.amdhsa_reserve_vcc 1
		.amdhsa_reserve_flat_scratch 0
		.amdhsa_float_round_mode_32 0
		.amdhsa_float_round_mode_16_64 0
		.amdhsa_float_denorm_mode_32 3
		.amdhsa_float_denorm_mode_16_64 3
		.amdhsa_dx10_clamp 1
		.amdhsa_ieee_mode 1
		.amdhsa_fp16_overflow 0
		.amdhsa_tg_split 0
		.amdhsa_exception_fp_ieee_invalid_op 0
		.amdhsa_exception_fp_denorm_src 0
		.amdhsa_exception_fp_ieee_div_zero 0
		.amdhsa_exception_fp_ieee_overflow 0
		.amdhsa_exception_fp_ieee_underflow 0
		.amdhsa_exception_fp_ieee_inexact 0
		.amdhsa_exception_int_div_zero 0
	.end_amdhsa_kernel
	.section	.text._Z16sort_keys_valuesILj256ELj4EjiN10test_utils4lessEEvPT1_PT2_T3_,"axG",@progbits,_Z16sort_keys_valuesILj256ELj4EjiN10test_utils4lessEEvPT1_PT2_T3_,comdat
.Lfunc_end25:
	.size	_Z16sort_keys_valuesILj256ELj4EjiN10test_utils4lessEEvPT1_PT2_T3_, .Lfunc_end25-_Z16sort_keys_valuesILj256ELj4EjiN10test_utils4lessEEvPT1_PT2_T3_
                                        ; -- End function
	.section	.AMDGPU.csdata,"",@progbits
; Kernel info:
; codeLenInByte = 220
; NumSgprs: 11
; NumVgprs: 12
; NumAgprs: 0
; TotalNumVgprs: 12
; ScratchSize: 0
; MemoryBound: 0
; FloatMode: 240
; IeeeMode: 1
; LDSByteSize: 0 bytes/workgroup (compile time only)
; SGPRBlocks: 1
; VGPRBlocks: 1
; NumSGPRsForWavesPerEU: 11
; NumVGPRsForWavesPerEU: 12
; AccumOffset: 12
; Occupancy: 8
; WaveLimiterHint : 0
; COMPUTE_PGM_RSRC2:SCRATCH_EN: 0
; COMPUTE_PGM_RSRC2:USER_SGPR: 6
; COMPUTE_PGM_RSRC2:TRAP_HANDLER: 0
; COMPUTE_PGM_RSRC2:TGID_X_EN: 1
; COMPUTE_PGM_RSRC2:TGID_Y_EN: 0
; COMPUTE_PGM_RSRC2:TGID_Z_EN: 0
; COMPUTE_PGM_RSRC2:TIDIG_COMP_CNT: 0
; COMPUTE_PGM_RSRC3_GFX90A:ACCUM_OFFSET: 2
; COMPUTE_PGM_RSRC3_GFX90A:TG_SPLIT: 0
	.section	.text._Z16sort_keys_valuesILj256ELj3EiiN10test_utils4lessEEvPT1_PT2_T3_,"axG",@progbits,_Z16sort_keys_valuesILj256ELj3EiiN10test_utils4lessEEvPT1_PT2_T3_,comdat
	.protected	_Z16sort_keys_valuesILj256ELj3EiiN10test_utils4lessEEvPT1_PT2_T3_ ; -- Begin function _Z16sort_keys_valuesILj256ELj3EiiN10test_utils4lessEEvPT1_PT2_T3_
	.globl	_Z16sort_keys_valuesILj256ELj3EiiN10test_utils4lessEEvPT1_PT2_T3_
	.p2align	8
	.type	_Z16sort_keys_valuesILj256ELj3EiiN10test_utils4lessEEvPT1_PT2_T3_,@function
_Z16sort_keys_valuesILj256ELj3EiiN10test_utils4lessEEvPT1_PT2_T3_: ; @_Z16sort_keys_valuesILj256ELj3EiiN10test_utils4lessEEvPT1_PT2_T3_
; %bb.0:
	s_load_dwordx4 s[0:3], s[4:5], 0x0
	s_mul_i32 s4, s6, 0x300
	s_mov_b32 s5, 0
	s_lshl_b64 s[4:5], s[4:5], 2
	v_mul_u32_u24_e32 v0, 3, v0
	s_waitcnt lgkmcnt(0)
	s_add_u32 s0, s0, s4
	s_addc_u32 s1, s1, s5
	v_lshlrev_b32_e32 v9, 2, v0
	s_add_u32 s2, s2, s4
	global_load_dwordx3 v[0:2], v9, s[0:1]
	s_addc_u32 s3, s3, s5
	global_load_dwordx3 v[4:6], v9, s[2:3]
	s_waitcnt vmcnt(1)
	v_max_i32_e32 v3, v1, v0
	v_cmp_lt_i32_e32 vcc, v1, v0
	v_min_i32_e32 v10, v2, v3
	s_waitcnt vmcnt(0)
	v_cndmask_b32_e32 v7, v4, v5, vcc
	v_cndmask_b32_e32 v5, v5, v4, vcc
	v_cndmask_b32_e32 v11, v0, v1, vcc
	v_cndmask_b32_e32 v0, v1, v0, vcc
	v_cmp_lt_i32_e32 vcc, v2, v3
	v_cndmask_b32_e32 v4, v6, v5, vcc
	v_cndmask_b32_e32 v1, v5, v6, vcc
	;; [unrolled: 1-line block ×4, first 2 shown]
	v_cmp_lt_i32_e32 vcc, v10, v11
	v_cndmask_b32_e32 v3, v1, v7, vcc
	v_cndmask_b32_e32 v2, v7, v1, vcc
	;; [unrolled: 1-line block ×4, first 2 shown]
	global_store_dwordx3 v9, v[6:8], s[0:1]
	global_store_dwordx3 v9, v[2:4], s[2:3]
	s_endpgm
	.section	.rodata,"a",@progbits
	.p2align	6, 0x0
	.amdhsa_kernel _Z16sort_keys_valuesILj256ELj3EiiN10test_utils4lessEEvPT1_PT2_T3_
		.amdhsa_group_segment_fixed_size 0
		.amdhsa_private_segment_fixed_size 0
		.amdhsa_kernarg_size 20
		.amdhsa_user_sgpr_count 6
		.amdhsa_user_sgpr_private_segment_buffer 1
		.amdhsa_user_sgpr_dispatch_ptr 0
		.amdhsa_user_sgpr_queue_ptr 0
		.amdhsa_user_sgpr_kernarg_segment_ptr 1
		.amdhsa_user_sgpr_dispatch_id 0
		.amdhsa_user_sgpr_flat_scratch_init 0
		.amdhsa_user_sgpr_kernarg_preload_length 0
		.amdhsa_user_sgpr_kernarg_preload_offset 0
		.amdhsa_user_sgpr_private_segment_size 0
		.amdhsa_uses_dynamic_stack 0
		.amdhsa_system_sgpr_private_segment_wavefront_offset 0
		.amdhsa_system_sgpr_workgroup_id_x 1
		.amdhsa_system_sgpr_workgroup_id_y 0
		.amdhsa_system_sgpr_workgroup_id_z 0
		.amdhsa_system_sgpr_workgroup_info 0
		.amdhsa_system_vgpr_workitem_id 0
		.amdhsa_next_free_vgpr 12
		.amdhsa_next_free_sgpr 7
		.amdhsa_accum_offset 12
		.amdhsa_reserve_vcc 1
		.amdhsa_reserve_flat_scratch 0
		.amdhsa_float_round_mode_32 0
		.amdhsa_float_round_mode_16_64 0
		.amdhsa_float_denorm_mode_32 3
		.amdhsa_float_denorm_mode_16_64 3
		.amdhsa_dx10_clamp 1
		.amdhsa_ieee_mode 1
		.amdhsa_fp16_overflow 0
		.amdhsa_tg_split 0
		.amdhsa_exception_fp_ieee_invalid_op 0
		.amdhsa_exception_fp_denorm_src 0
		.amdhsa_exception_fp_ieee_div_zero 0
		.amdhsa_exception_fp_ieee_overflow 0
		.amdhsa_exception_fp_ieee_underflow 0
		.amdhsa_exception_fp_ieee_inexact 0
		.amdhsa_exception_int_div_zero 0
	.end_amdhsa_kernel
	.section	.text._Z16sort_keys_valuesILj256ELj3EiiN10test_utils4lessEEvPT1_PT2_T3_,"axG",@progbits,_Z16sort_keys_valuesILj256ELj3EiiN10test_utils4lessEEvPT1_PT2_T3_,comdat
.Lfunc_end26:
	.size	_Z16sort_keys_valuesILj256ELj3EiiN10test_utils4lessEEvPT1_PT2_T3_, .Lfunc_end26-_Z16sort_keys_valuesILj256ELj3EiiN10test_utils4lessEEvPT1_PT2_T3_
                                        ; -- End function
	.section	.AMDGPU.csdata,"",@progbits
; Kernel info:
; codeLenInByte = 164
; NumSgprs: 11
; NumVgprs: 12
; NumAgprs: 0
; TotalNumVgprs: 12
; ScratchSize: 0
; MemoryBound: 0
; FloatMode: 240
; IeeeMode: 1
; LDSByteSize: 0 bytes/workgroup (compile time only)
; SGPRBlocks: 1
; VGPRBlocks: 1
; NumSGPRsForWavesPerEU: 11
; NumVGPRsForWavesPerEU: 12
; AccumOffset: 12
; Occupancy: 8
; WaveLimiterHint : 0
; COMPUTE_PGM_RSRC2:SCRATCH_EN: 0
; COMPUTE_PGM_RSRC2:USER_SGPR: 6
; COMPUTE_PGM_RSRC2:TRAP_HANDLER: 0
; COMPUTE_PGM_RSRC2:TGID_X_EN: 1
; COMPUTE_PGM_RSRC2:TGID_Y_EN: 0
; COMPUTE_PGM_RSRC2:TGID_Z_EN: 0
; COMPUTE_PGM_RSRC2:TIDIG_COMP_CNT: 0
; COMPUTE_PGM_RSRC3_GFX90A:ACCUM_OFFSET: 2
; COMPUTE_PGM_RSRC3_GFX90A:TG_SPLIT: 0
	.section	.text._Z16sort_keys_valuesILj256ELj2EjiN10test_utils4lessEEvPT1_PT2_T3_,"axG",@progbits,_Z16sort_keys_valuesILj256ELj2EjiN10test_utils4lessEEvPT1_PT2_T3_,comdat
	.protected	_Z16sort_keys_valuesILj256ELj2EjiN10test_utils4lessEEvPT1_PT2_T3_ ; -- Begin function _Z16sort_keys_valuesILj256ELj2EjiN10test_utils4lessEEvPT1_PT2_T3_
	.globl	_Z16sort_keys_valuesILj256ELj2EjiN10test_utils4lessEEvPT1_PT2_T3_
	.p2align	8
	.type	_Z16sort_keys_valuesILj256ELj2EjiN10test_utils4lessEEvPT1_PT2_T3_,@function
_Z16sort_keys_valuesILj256ELj2EjiN10test_utils4lessEEvPT1_PT2_T3_: ; @_Z16sort_keys_valuesILj256ELj2EjiN10test_utils4lessEEvPT1_PT2_T3_
; %bb.0:
	s_load_dwordx4 s[0:3], s[4:5], 0x0
	s_lshl_b32 s4, s6, 9
	s_mov_b32 s5, 0
	s_lshl_b64 s[4:5], s[4:5], 2
	v_lshlrev_b32_e32 v6, 3, v0
	s_waitcnt lgkmcnt(0)
	s_add_u32 s0, s0, s4
	s_addc_u32 s1, s1, s5
	s_add_u32 s2, s2, s4
	s_addc_u32 s3, s3, s5
	global_load_dwordx2 v[0:1], v6, s[0:1]
	global_load_dwordx2 v[2:3], v6, s[2:3]
	s_waitcnt vmcnt(1)
	v_cmp_lt_u32_e32 vcc, v1, v0
	s_waitcnt vmcnt(0)
	v_cndmask_b32_e32 v5, v3, v2, vcc
	v_cndmask_b32_e32 v4, v2, v3, vcc
	v_cndmask_b32_e32 v3, v1, v0, vcc
	v_cndmask_b32_e32 v2, v0, v1, vcc
	global_store_dwordx2 v6, v[2:3], s[0:1]
	global_store_dwordx2 v6, v[4:5], s[2:3]
	s_endpgm
	.section	.rodata,"a",@progbits
	.p2align	6, 0x0
	.amdhsa_kernel _Z16sort_keys_valuesILj256ELj2EjiN10test_utils4lessEEvPT1_PT2_T3_
		.amdhsa_group_segment_fixed_size 0
		.amdhsa_private_segment_fixed_size 0
		.amdhsa_kernarg_size 20
		.amdhsa_user_sgpr_count 6
		.amdhsa_user_sgpr_private_segment_buffer 1
		.amdhsa_user_sgpr_dispatch_ptr 0
		.amdhsa_user_sgpr_queue_ptr 0
		.amdhsa_user_sgpr_kernarg_segment_ptr 1
		.amdhsa_user_sgpr_dispatch_id 0
		.amdhsa_user_sgpr_flat_scratch_init 0
		.amdhsa_user_sgpr_kernarg_preload_length 0
		.amdhsa_user_sgpr_kernarg_preload_offset 0
		.amdhsa_user_sgpr_private_segment_size 0
		.amdhsa_uses_dynamic_stack 0
		.amdhsa_system_sgpr_private_segment_wavefront_offset 0
		.amdhsa_system_sgpr_workgroup_id_x 1
		.amdhsa_system_sgpr_workgroup_id_y 0
		.amdhsa_system_sgpr_workgroup_id_z 0
		.amdhsa_system_sgpr_workgroup_info 0
		.amdhsa_system_vgpr_workitem_id 0
		.amdhsa_next_free_vgpr 7
		.amdhsa_next_free_sgpr 7
		.amdhsa_accum_offset 8
		.amdhsa_reserve_vcc 1
		.amdhsa_reserve_flat_scratch 0
		.amdhsa_float_round_mode_32 0
		.amdhsa_float_round_mode_16_64 0
		.amdhsa_float_denorm_mode_32 3
		.amdhsa_float_denorm_mode_16_64 3
		.amdhsa_dx10_clamp 1
		.amdhsa_ieee_mode 1
		.amdhsa_fp16_overflow 0
		.amdhsa_tg_split 0
		.amdhsa_exception_fp_ieee_invalid_op 0
		.amdhsa_exception_fp_denorm_src 0
		.amdhsa_exception_fp_ieee_div_zero 0
		.amdhsa_exception_fp_ieee_overflow 0
		.amdhsa_exception_fp_ieee_underflow 0
		.amdhsa_exception_fp_ieee_inexact 0
		.amdhsa_exception_int_div_zero 0
	.end_amdhsa_kernel
	.section	.text._Z16sort_keys_valuesILj256ELj2EjiN10test_utils4lessEEvPT1_PT2_T3_,"axG",@progbits,_Z16sort_keys_valuesILj256ELj2EjiN10test_utils4lessEEvPT1_PT2_T3_,comdat
.Lfunc_end27:
	.size	_Z16sort_keys_valuesILj256ELj2EjiN10test_utils4lessEEvPT1_PT2_T3_, .Lfunc_end27-_Z16sort_keys_valuesILj256ELj2EjiN10test_utils4lessEEvPT1_PT2_T3_
                                        ; -- End function
	.section	.AMDGPU.csdata,"",@progbits
; Kernel info:
; codeLenInByte = 108
; NumSgprs: 11
; NumVgprs: 7
; NumAgprs: 0
; TotalNumVgprs: 7
; ScratchSize: 0
; MemoryBound: 0
; FloatMode: 240
; IeeeMode: 1
; LDSByteSize: 0 bytes/workgroup (compile time only)
; SGPRBlocks: 1
; VGPRBlocks: 0
; NumSGPRsForWavesPerEU: 11
; NumVGPRsForWavesPerEU: 7
; AccumOffset: 8
; Occupancy: 8
; WaveLimiterHint : 0
; COMPUTE_PGM_RSRC2:SCRATCH_EN: 0
; COMPUTE_PGM_RSRC2:USER_SGPR: 6
; COMPUTE_PGM_RSRC2:TRAP_HANDLER: 0
; COMPUTE_PGM_RSRC2:TGID_X_EN: 1
; COMPUTE_PGM_RSRC2:TGID_Y_EN: 0
; COMPUTE_PGM_RSRC2:TGID_Z_EN: 0
; COMPUTE_PGM_RSRC2:TIDIG_COMP_CNT: 0
; COMPUTE_PGM_RSRC3_GFX90A:ACCUM_OFFSET: 1
; COMPUTE_PGM_RSRC3_GFX90A:TG_SPLIT: 0
	.section	.text._Z16sort_keys_valuesILj256ELj1EiiN10test_utils4lessEEvPT1_PT2_T3_,"axG",@progbits,_Z16sort_keys_valuesILj256ELj1EiiN10test_utils4lessEEvPT1_PT2_T3_,comdat
	.protected	_Z16sort_keys_valuesILj256ELj1EiiN10test_utils4lessEEvPT1_PT2_T3_ ; -- Begin function _Z16sort_keys_valuesILj256ELj1EiiN10test_utils4lessEEvPT1_PT2_T3_
	.globl	_Z16sort_keys_valuesILj256ELj1EiiN10test_utils4lessEEvPT1_PT2_T3_
	.p2align	8
	.type	_Z16sort_keys_valuesILj256ELj1EiiN10test_utils4lessEEvPT1_PT2_T3_,@function
_Z16sort_keys_valuesILj256ELj1EiiN10test_utils4lessEEvPT1_PT2_T3_: ; @_Z16sort_keys_valuesILj256ELj1EiiN10test_utils4lessEEvPT1_PT2_T3_
; %bb.0:
	s_endpgm
	.section	.rodata,"a",@progbits
	.p2align	6, 0x0
	.amdhsa_kernel _Z16sort_keys_valuesILj256ELj1EiiN10test_utils4lessEEvPT1_PT2_T3_
		.amdhsa_group_segment_fixed_size 0
		.amdhsa_private_segment_fixed_size 0
		.amdhsa_kernarg_size 20
		.amdhsa_user_sgpr_count 6
		.amdhsa_user_sgpr_private_segment_buffer 1
		.amdhsa_user_sgpr_dispatch_ptr 0
		.amdhsa_user_sgpr_queue_ptr 0
		.amdhsa_user_sgpr_kernarg_segment_ptr 1
		.amdhsa_user_sgpr_dispatch_id 0
		.amdhsa_user_sgpr_flat_scratch_init 0
		.amdhsa_user_sgpr_kernarg_preload_length 0
		.amdhsa_user_sgpr_kernarg_preload_offset 0
		.amdhsa_user_sgpr_private_segment_size 0
		.amdhsa_uses_dynamic_stack 0
		.amdhsa_system_sgpr_private_segment_wavefront_offset 0
		.amdhsa_system_sgpr_workgroup_id_x 1
		.amdhsa_system_sgpr_workgroup_id_y 0
		.amdhsa_system_sgpr_workgroup_id_z 0
		.amdhsa_system_sgpr_workgroup_info 0
		.amdhsa_system_vgpr_workitem_id 0
		.amdhsa_next_free_vgpr 1
		.amdhsa_next_free_sgpr 0
		.amdhsa_accum_offset 4
		.amdhsa_reserve_vcc 0
		.amdhsa_reserve_flat_scratch 0
		.amdhsa_float_round_mode_32 0
		.amdhsa_float_round_mode_16_64 0
		.amdhsa_float_denorm_mode_32 3
		.amdhsa_float_denorm_mode_16_64 3
		.amdhsa_dx10_clamp 1
		.amdhsa_ieee_mode 1
		.amdhsa_fp16_overflow 0
		.amdhsa_tg_split 0
		.amdhsa_exception_fp_ieee_invalid_op 0
		.amdhsa_exception_fp_denorm_src 0
		.amdhsa_exception_fp_ieee_div_zero 0
		.amdhsa_exception_fp_ieee_overflow 0
		.amdhsa_exception_fp_ieee_underflow 0
		.amdhsa_exception_fp_ieee_inexact 0
		.amdhsa_exception_int_div_zero 0
	.end_amdhsa_kernel
	.section	.text._Z16sort_keys_valuesILj256ELj1EiiN10test_utils4lessEEvPT1_PT2_T3_,"axG",@progbits,_Z16sort_keys_valuesILj256ELj1EiiN10test_utils4lessEEvPT1_PT2_T3_,comdat
.Lfunc_end28:
	.size	_Z16sort_keys_valuesILj256ELj1EiiN10test_utils4lessEEvPT1_PT2_T3_, .Lfunc_end28-_Z16sort_keys_valuesILj256ELj1EiiN10test_utils4lessEEvPT1_PT2_T3_
                                        ; -- End function
	.section	.AMDGPU.csdata,"",@progbits
; Kernel info:
; codeLenInByte = 4
; NumSgprs: 4
; NumVgprs: 0
; NumAgprs: 0
; TotalNumVgprs: 0
; ScratchSize: 0
; MemoryBound: 0
; FloatMode: 240
; IeeeMode: 1
; LDSByteSize: 0 bytes/workgroup (compile time only)
; SGPRBlocks: 0
; VGPRBlocks: 0
; NumSGPRsForWavesPerEU: 4
; NumVGPRsForWavesPerEU: 1
; AccumOffset: 4
; Occupancy: 8
; WaveLimiterHint : 0
; COMPUTE_PGM_RSRC2:SCRATCH_EN: 0
; COMPUTE_PGM_RSRC2:USER_SGPR: 6
; COMPUTE_PGM_RSRC2:TRAP_HANDLER: 0
; COMPUTE_PGM_RSRC2:TGID_X_EN: 1
; COMPUTE_PGM_RSRC2:TGID_Y_EN: 0
; COMPUTE_PGM_RSRC2:TGID_Z_EN: 0
; COMPUTE_PGM_RSRC2:TIDIG_COMP_CNT: 0
; COMPUTE_PGM_RSRC3_GFX90A:ACCUM_OFFSET: 0
; COMPUTE_PGM_RSRC3_GFX90A:TG_SPLIT: 0
	.text
	.p2alignl 6, 3212836864
	.fill 256, 4, 3212836864
	.type	__hip_cuid_2d36baba0ced8291,@object ; @__hip_cuid_2d36baba0ced8291
	.section	.bss,"aw",@nobits
	.globl	__hip_cuid_2d36baba0ced8291
__hip_cuid_2d36baba0ced8291:
	.byte	0                               ; 0x0
	.size	__hip_cuid_2d36baba0ced8291, 1

	.ident	"AMD clang version 19.0.0git (https://github.com/RadeonOpenCompute/llvm-project roc-6.4.0 25133 c7fe45cf4b819c5991fe208aaa96edf142730f1d)"
	.section	".note.GNU-stack","",@progbits
	.addrsig
	.addrsig_sym __hip_cuid_2d36baba0ced8291
	.amdgpu_metadata
---
amdhsa.kernels:
  - .agpr_count:     0
    .args:
      - .address_space:  global
        .offset:         0
        .size:           8
        .value_kind:     global_buffer
      - .offset:         8
        .size:           1
        .value_kind:     by_value
    .group_segment_fixed_size: 0
    .kernarg_segment_align: 8
    .kernarg_segment_size: 12
    .language:       OpenCL C
    .language_version:
      - 2
      - 0
    .max_flat_workgroup_size: 256
    .name:           _Z9sort_keysILj256ELj7E12hip_bfloat16N10test_utils4lessEEvPT1_T2_
    .private_segment_fixed_size: 0
    .sgpr_count:     11
    .sgpr_spill_count: 0
    .symbol:         _Z9sort_keysILj256ELj7E12hip_bfloat16N10test_utils4lessEEvPT1_T2_.kd
    .uniform_work_group_size: 1
    .uses_dynamic_stack: false
    .vgpr_count:     15
    .vgpr_spill_count: 0
    .wavefront_size: 64
  - .agpr_count:     0
    .args:
      - .address_space:  global
        .offset:         0
        .size:           8
        .value_kind:     global_buffer
      - .offset:         8
        .size:           1
        .value_kind:     by_value
    .group_segment_fixed_size: 0
    .kernarg_segment_align: 8
    .kernarg_segment_size: 12
    .language:       OpenCL C
    .language_version:
      - 2
      - 0
    .max_flat_workgroup_size: 256
    .name:           _Z9sort_keysILj256ELj6E6__halfN10test_utils4lessEEvPT1_T2_
    .private_segment_fixed_size: 0
    .sgpr_count:     11
    .sgpr_spill_count: 0
    .symbol:         _Z9sort_keysILj256ELj6E6__halfN10test_utils4lessEEvPT1_T2_.kd
    .uniform_work_group_size: 1
    .uses_dynamic_stack: false
    .vgpr_count:     16
    .vgpr_spill_count: 0
    .wavefront_size: 64
  - .agpr_count:     0
    .args:
      - .address_space:  global
        .offset:         0
        .size:           8
        .value_kind:     global_buffer
      - .offset:         8
        .size:           1
        .value_kind:     by_value
    .group_segment_fixed_size: 0
    .kernarg_segment_align: 8
    .kernarg_segment_size: 12
    .language:       OpenCL C
    .language_version:
      - 2
      - 0
    .max_flat_workgroup_size: 256
    .name:           _Z9sort_keysILj256ELj4EN10test_utils16custom_test_typeIiEENS0_4lessEEvPT1_T2_
    .private_segment_fixed_size: 0
    .sgpr_count:     12
    .sgpr_spill_count: 0
    .symbol:         _Z9sort_keysILj256ELj4EN10test_utils16custom_test_typeIiEENS0_4lessEEvPT1_T2_.kd
    .uniform_work_group_size: 1
    .uses_dynamic_stack: false
    .vgpr_count:     24
    .vgpr_spill_count: 0
    .wavefront_size: 64
  - .agpr_count:     0
    .args:
      - .address_space:  global
        .offset:         0
        .size:           8
        .value_kind:     global_buffer
      - .offset:         8
        .size:           1
        .value_kind:     by_value
    .group_segment_fixed_size: 0
    .kernarg_segment_align: 8
    .kernarg_segment_size: 12
    .language:       OpenCL C
    .language_version:
      - 2
      - 0
    .max_flat_workgroup_size: 256
    .name:           _Z9sort_keysILj256ELj11EdN10test_utils4lessEEvPT1_T2_
    .private_segment_fixed_size: 0
    .sgpr_count:     14
    .sgpr_spill_count: 0
    .symbol:         _Z9sort_keysILj256ELj11EdN10test_utils4lessEEvPT1_T2_.kd
    .uniform_work_group_size: 1
    .uses_dynamic_stack: false
    .vgpr_count:     34
    .vgpr_spill_count: 0
    .wavefront_size: 64
  - .agpr_count:     0
    .args:
      - .address_space:  global
        .offset:         0
        .size:           8
        .value_kind:     global_buffer
      - .offset:         8
        .size:           1
        .value_kind:     by_value
    .group_segment_fixed_size: 0
    .kernarg_segment_align: 8
    .kernarg_segment_size: 12
    .language:       OpenCL C
    .language_version:
      - 2
      - 0
    .max_flat_workgroup_size: 256
    .name:           _Z9sort_keysILj256ELj10EhN10test_utils4lessEEvPT1_T2_
    .private_segment_fixed_size: 0
    .sgpr_count:     14
    .sgpr_spill_count: 0
    .symbol:         _Z9sort_keysILj256ELj10EhN10test_utils4lessEEvPT1_T2_.kd
    .uniform_work_group_size: 1
    .uses_dynamic_stack: false
    .vgpr_count:     34
    .vgpr_spill_count: 0
    .wavefront_size: 64
  - .agpr_count:     0
    .args:
      - .address_space:  global
        .offset:         0
        .size:           8
        .value_kind:     global_buffer
      - .offset:         8
        .size:           1
        .value_kind:     by_value
    .group_segment_fixed_size: 0
    .kernarg_segment_align: 8
    .kernarg_segment_size: 12
    .language:       OpenCL C
    .language_version:
      - 2
      - 0
    .max_flat_workgroup_size: 256
    .name:           _Z9sort_keysILj256ELj9EyN10test_utils4lessEEvPT1_T2_
    .private_segment_fixed_size: 0
    .sgpr_count:     20
    .sgpr_spill_count: 0
    .symbol:         _Z9sort_keysILj256ELj9EyN10test_utils4lessEEvPT1_T2_.kd
    .uniform_work_group_size: 1
    .uses_dynamic_stack: false
    .vgpr_count:     45
    .vgpr_spill_count: 0
    .wavefront_size: 64
  - .agpr_count:     0
    .args:
      - .address_space:  global
        .offset:         0
        .size:           8
        .value_kind:     global_buffer
      - .offset:         8
        .size:           1
        .value_kind:     by_value
    .group_segment_fixed_size: 0
    .kernarg_segment_align: 8
    .kernarg_segment_size: 12
    .language:       OpenCL C
    .language_version:
      - 2
      - 0
    .max_flat_workgroup_size: 256
    .name:           _Z9sort_keysILj256ELj8EtN10test_utils4lessEEvPT1_T2_
    .private_segment_fixed_size: 0
    .sgpr_count:     11
    .sgpr_spill_count: 0
    .symbol:         _Z9sort_keysILj256ELj8EtN10test_utils4lessEEvPT1_T2_.kd
    .uniform_work_group_size: 1
    .uses_dynamic_stack: false
    .vgpr_count:     31
    .vgpr_spill_count: 0
    .wavefront_size: 64
  - .agpr_count:     0
    .args:
      - .address_space:  global
        .offset:         0
        .size:           8
        .value_kind:     global_buffer
      - .offset:         8
        .size:           1
        .value_kind:     by_value
    .group_segment_fixed_size: 0
    .kernarg_segment_align: 8
    .kernarg_segment_size: 12
    .language:       OpenCL C
    .language_version:
      - 2
      - 0
    .max_flat_workgroup_size: 256
    .name:           _Z9sort_keysILj256ELj7EiN10test_utils4lessEEvPT1_T2_
    .private_segment_fixed_size: 0
    .sgpr_count:     11
    .sgpr_spill_count: 0
    .symbol:         _Z9sort_keysILj256ELj7EiN10test_utils4lessEEvPT1_T2_.kd
    .uniform_work_group_size: 1
    .uses_dynamic_stack: false
    .vgpr_count:     20
    .vgpr_spill_count: 0
    .wavefront_size: 64
  - .agpr_count:     0
    .args:
      - .address_space:  global
        .offset:         0
        .size:           8
        .value_kind:     global_buffer
      - .offset:         8
        .size:           1
        .value_kind:     by_value
    .group_segment_fixed_size: 0
    .kernarg_segment_align: 8
    .kernarg_segment_size: 12
    .language:       OpenCL C
    .language_version:
      - 2
      - 0
    .max_flat_workgroup_size: 256
    .name:           _Z9sort_keysILj256ELj6EfN10test_utils7greaterEEvPT1_T2_
    .private_segment_fixed_size: 0
    .sgpr_count:     11
    .sgpr_spill_count: 0
    .symbol:         _Z9sort_keysILj256ELj6EfN10test_utils7greaterEEvPT1_T2_.kd
    .uniform_work_group_size: 1
    .uses_dynamic_stack: false
    .vgpr_count:     10
    .vgpr_spill_count: 0
    .wavefront_size: 64
  - .agpr_count:     0
    .args:
      - .address_space:  global
        .offset:         0
        .size:           8
        .value_kind:     global_buffer
      - .offset:         8
        .size:           1
        .value_kind:     by_value
    .group_segment_fixed_size: 0
    .kernarg_segment_align: 8
    .kernarg_segment_size: 12
    .language:       OpenCL C
    .language_version:
      - 2
      - 0
    .max_flat_workgroup_size: 256
    .name:           _Z9sort_keysILj256ELj5EtN10test_utils4lessEEvPT1_T2_
    .private_segment_fixed_size: 0
    .sgpr_count:     11
    .sgpr_spill_count: 0
    .symbol:         _Z9sort_keysILj256ELj5EtN10test_utils4lessEEvPT1_T2_.kd
    .uniform_work_group_size: 1
    .uses_dynamic_stack: false
    .vgpr_count:     18
    .vgpr_spill_count: 0
    .wavefront_size: 64
  - .agpr_count:     0
    .args:
      - .address_space:  global
        .offset:         0
        .size:           8
        .value_kind:     global_buffer
      - .offset:         8
        .size:           1
        .value_kind:     by_value
    .group_segment_fixed_size: 0
    .kernarg_segment_align: 8
    .kernarg_segment_size: 12
    .language:       OpenCL C
    .language_version:
      - 2
      - 0
    .max_flat_workgroup_size: 256
    .name:           _Z9sort_keysILj256ELj4EjN10test_utils4lessEEvPT1_T2_
    .private_segment_fixed_size: 0
    .sgpr_count:     11
    .sgpr_spill_count: 0
    .symbol:         _Z9sort_keysILj256ELj4EjN10test_utils4lessEEvPT1_T2_.kd
    .uniform_work_group_size: 1
    .uses_dynamic_stack: false
    .vgpr_count:     12
    .vgpr_spill_count: 0
    .wavefront_size: 64
  - .agpr_count:     0
    .args:
      - .address_space:  global
        .offset:         0
        .size:           8
        .value_kind:     global_buffer
      - .offset:         8
        .size:           1
        .value_kind:     by_value
    .group_segment_fixed_size: 0
    .kernarg_segment_align: 8
    .kernarg_segment_size: 12
    .language:       OpenCL C
    .language_version:
      - 2
      - 0
    .max_flat_workgroup_size: 256
    .name:           _Z9sort_keysILj256ELj3EiN10test_utils4lessEEvPT1_T2_
    .private_segment_fixed_size: 0
    .sgpr_count:     11
    .sgpr_spill_count: 0
    .symbol:         _Z9sort_keysILj256ELj3EiN10test_utils4lessEEvPT1_T2_.kd
    .uniform_work_group_size: 1
    .uses_dynamic_stack: false
    .vgpr_count:     8
    .vgpr_spill_count: 0
    .wavefront_size: 64
  - .agpr_count:     0
    .args:
      - .address_space:  global
        .offset:         0
        .size:           8
        .value_kind:     global_buffer
      - .offset:         8
        .size:           1
        .value_kind:     by_value
    .group_segment_fixed_size: 0
    .kernarg_segment_align: 8
    .kernarg_segment_size: 12
    .language:       OpenCL C
    .language_version:
      - 2
      - 0
    .max_flat_workgroup_size: 256
    .name:           _Z9sort_keysILj256ELj2EjN10test_utils4lessEEvPT1_T2_
    .private_segment_fixed_size: 0
    .sgpr_count:     11
    .sgpr_spill_count: 0
    .symbol:         _Z9sort_keysILj256ELj2EjN10test_utils4lessEEvPT1_T2_.kd
    .uniform_work_group_size: 1
    .uses_dynamic_stack: false
    .vgpr_count:     5
    .vgpr_spill_count: 0
    .wavefront_size: 64
  - .agpr_count:     0
    .args:
      - .address_space:  global
        .offset:         0
        .size:           8
        .value_kind:     global_buffer
      - .offset:         8
        .size:           1
        .value_kind:     by_value
    .group_segment_fixed_size: 0
    .kernarg_segment_align: 8
    .kernarg_segment_size: 12
    .language:       OpenCL C
    .language_version:
      - 2
      - 0
    .max_flat_workgroup_size: 256
    .name:           _Z9sort_keysILj256ELj1EiN10test_utils4lessEEvPT1_T2_
    .private_segment_fixed_size: 0
    .sgpr_count:     4
    .sgpr_spill_count: 0
    .symbol:         _Z9sort_keysILj256ELj1EiN10test_utils4lessEEvPT1_T2_.kd
    .uniform_work_group_size: 1
    .uses_dynamic_stack: false
    .vgpr_count:     0
    .vgpr_spill_count: 0
    .wavefront_size: 64
  - .agpr_count:     0
    .args:
      - .address_space:  global
        .offset:         0
        .size:           8
        .value_kind:     global_buffer
      - .address_space:  global
        .offset:         8
        .size:           8
        .value_kind:     global_buffer
      - .offset:         16
        .size:           1
        .value_kind:     by_value
    .group_segment_fixed_size: 0
    .kernarg_segment_align: 8
    .kernarg_segment_size: 20
    .language:       OpenCL C
    .language_version:
      - 2
      - 0
    .max_flat_workgroup_size: 256
    .name:           _Z16sort_keys_valuesILj256ELj7E12hip_bfloat16iN10test_utils4lessEEvPT1_PT2_T3_
    .private_segment_fixed_size: 0
    .sgpr_count:     14
    .sgpr_spill_count: 0
    .symbol:         _Z16sort_keys_valuesILj256ELj7E12hip_bfloat16iN10test_utils4lessEEvPT1_PT2_T3_.kd
    .uniform_work_group_size: 1
    .uses_dynamic_stack: false
    .vgpr_count:     23
    .vgpr_spill_count: 0
    .wavefront_size: 64
  - .agpr_count:     0
    .args:
      - .address_space:  global
        .offset:         0
        .size:           8
        .value_kind:     global_buffer
      - .address_space:  global
        .offset:         8
        .size:           8
        .value_kind:     global_buffer
      - .offset:         16
        .size:           1
        .value_kind:     by_value
    .group_segment_fixed_size: 0
    .kernarg_segment_align: 8
    .kernarg_segment_size: 20
    .language:       OpenCL C
    .language_version:
      - 2
      - 0
    .max_flat_workgroup_size: 256
    .name:           _Z16sort_keys_valuesILj256ELj6E6__halfS0_N10test_utils4lessEEvPT1_PT2_T3_
    .private_segment_fixed_size: 0
    .sgpr_count:     11
    .sgpr_spill_count: 0
    .symbol:         _Z16sort_keys_valuesILj256ELj6E6__halfS0_N10test_utils4lessEEvPT1_PT2_T3_.kd
    .uniform_work_group_size: 1
    .uses_dynamic_stack: false
    .vgpr_count:     21
    .vgpr_spill_count: 0
    .wavefront_size: 64
  - .agpr_count:     0
    .args:
      - .address_space:  global
        .offset:         0
        .size:           8
        .value_kind:     global_buffer
      - .address_space:  global
        .offset:         8
        .size:           8
        .value_kind:     global_buffer
      - .offset:         16
        .size:           1
        .value_kind:     by_value
    .group_segment_fixed_size: 0
    .kernarg_segment_align: 8
    .kernarg_segment_size: 20
    .language:       OpenCL C
    .language_version:
      - 2
      - 0
    .max_flat_workgroup_size: 256
    .name:           _Z16sort_keys_valuesILj256ELj7E12hip_bfloat16S0_N10test_utils4lessEEvPT1_PT2_T3_
    .private_segment_fixed_size: 0
    .sgpr_count:     11
    .sgpr_spill_count: 0
    .symbol:         _Z16sort_keys_valuesILj256ELj7E12hip_bfloat16S0_N10test_utils4lessEEvPT1_PT2_T3_.kd
    .uniform_work_group_size: 1
    .uses_dynamic_stack: false
    .vgpr_count:     22
    .vgpr_spill_count: 0
    .wavefront_size: 64
  - .agpr_count:     0
    .args:
      - .address_space:  global
        .offset:         0
        .size:           8
        .value_kind:     global_buffer
      - .address_space:  global
        .offset:         8
        .size:           8
        .value_kind:     global_buffer
      - .offset:         16
        .size:           1
        .value_kind:     by_value
    .group_segment_fixed_size: 0
    .kernarg_segment_align: 8
    .kernarg_segment_size: 20
    .language:       OpenCL C
    .language_version:
      - 2
      - 0
    .max_flat_workgroup_size: 256
    .name:           _Z16sort_keys_valuesILj256ELj4EN10test_utils16custom_test_typeIiEENS1_IcEENS0_4lessEEvPT1_PT2_T3_
    .private_segment_fixed_size: 0
    .sgpr_count:     12
    .sgpr_spill_count: 0
    .symbol:         _Z16sort_keys_valuesILj256ELj4EN10test_utils16custom_test_typeIiEENS1_IcEENS0_4lessEEvPT1_PT2_T3_.kd
    .uniform_work_group_size: 1
    .uses_dynamic_stack: false
    .vgpr_count:     30
    .vgpr_spill_count: 0
    .wavefront_size: 64
  - .agpr_count:     256
    .args:
      - .address_space:  global
        .offset:         0
        .size:           8
        .value_kind:     global_buffer
      - .address_space:  global
        .offset:         8
        .size:           8
        .value_kind:     global_buffer
      - .offset:         16
        .size:           1
        .value_kind:     by_value
    .group_segment_fixed_size: 0
    .kernarg_segment_align: 8
    .kernarg_segment_size: 20
    .language:       OpenCL C
    .language_version:
      - 2
      - 0
    .max_flat_workgroup_size: 256
    .name:           _Z16sort_keys_valuesILj256ELj11EdxN10test_utils4lessEEvPT1_PT2_T3_
    .private_segment_fixed_size: 260
    .sgpr_count:     16
    .sgpr_spill_count: 0
    .symbol:         _Z16sort_keys_valuesILj256ELj11EdxN10test_utils4lessEEvPT1_PT2_T3_.kd
    .uniform_work_group_size: 1
    .uses_dynamic_stack: false
    .vgpr_count:     512
    .vgpr_spill_count: 704
    .wavefront_size: 64
  - .agpr_count:     0
    .args:
      - .address_space:  global
        .offset:         0
        .size:           8
        .value_kind:     global_buffer
      - .address_space:  global
        .offset:         8
        .size:           8
        .value_kind:     global_buffer
      - .offset:         16
        .size:           1
        .value_kind:     by_value
    .group_segment_fixed_size: 0
    .kernarg_segment_align: 8
    .kernarg_segment_size: 20
    .language:       OpenCL C
    .language_version:
      - 2
      - 0
    .max_flat_workgroup_size: 256
    .name:           _Z16sort_keys_valuesILj256ELj10EhiN10test_utils4lessEEvPT1_PT2_T3_
    .private_segment_fixed_size: 0
    .sgpr_count:     20
    .sgpr_spill_count: 0
    .symbol:         _Z16sort_keys_valuesILj256ELj10EhiN10test_utils4lessEEvPT1_PT2_T3_.kd
    .uniform_work_group_size: 1
    .uses_dynamic_stack: false
    .vgpr_count:     21
    .vgpr_spill_count: 0
    .wavefront_size: 64
  - .agpr_count:     0
    .args:
      - .address_space:  global
        .offset:         0
        .size:           8
        .value_kind:     global_buffer
      - .address_space:  global
        .offset:         8
        .size:           8
        .value_kind:     global_buffer
      - .offset:         16
        .size:           1
        .value_kind:     by_value
    .group_segment_fixed_size: 0
    .kernarg_segment_align: 8
    .kernarg_segment_size: 20
    .language:       OpenCL C
    .language_version:
      - 2
      - 0
    .max_flat_workgroup_size: 256
    .name:           _Z16sort_keys_valuesILj256ELj9EycN10test_utils4lessEEvPT1_PT2_T3_
    .private_segment_fixed_size: 0
    .sgpr_count:     26
    .sgpr_spill_count: 0
    .symbol:         _Z16sort_keys_valuesILj256ELj9EycN10test_utils4lessEEvPT1_PT2_T3_.kd
    .uniform_work_group_size: 1
    .uses_dynamic_stack: false
    .vgpr_count:     32
    .vgpr_spill_count: 0
    .wavefront_size: 64
  - .agpr_count:     0
    .args:
      - .address_space:  global
        .offset:         0
        .size:           8
        .value_kind:     global_buffer
      - .address_space:  global
        .offset:         8
        .size:           8
        .value_kind:     global_buffer
      - .offset:         16
        .size:           1
        .value_kind:     by_value
    .group_segment_fixed_size: 0
    .kernarg_segment_align: 8
    .kernarg_segment_size: 20
    .language:       OpenCL C
    .language_version:
      - 2
      - 0
    .max_flat_workgroup_size: 256
    .name:           _Z16sort_keys_valuesILj256ELj8EtcN10test_utils4lessEEvPT1_PT2_T3_
    .private_segment_fixed_size: 0
    .sgpr_count:     19
    .sgpr_spill_count: 0
    .symbol:         _Z16sort_keys_valuesILj256ELj8EtcN10test_utils4lessEEvPT1_PT2_T3_.kd
    .uniform_work_group_size: 1
    .uses_dynamic_stack: false
    .vgpr_count:     14
    .vgpr_spill_count: 0
    .wavefront_size: 64
  - .agpr_count:     0
    .args:
      - .address_space:  global
        .offset:         0
        .size:           8
        .value_kind:     global_buffer
      - .address_space:  global
        .offset:         8
        .size:           8
        .value_kind:     global_buffer
      - .offset:         16
        .size:           1
        .value_kind:     by_value
    .group_segment_fixed_size: 0
    .kernarg_segment_align: 8
    .kernarg_segment_size: 20
    .language:       OpenCL C
    .language_version:
      - 2
      - 0
    .max_flat_workgroup_size: 256
    .name:           _Z16sort_keys_valuesILj256ELj7EisN10test_utils4lessEEvPT1_PT2_T3_
    .private_segment_fixed_size: 0
    .sgpr_count:     12
    .sgpr_spill_count: 0
    .symbol:         _Z16sort_keys_valuesILj256ELj7EisN10test_utils4lessEEvPT1_PT2_T3_.kd
    .uniform_work_group_size: 1
    .uses_dynamic_stack: false
    .vgpr_count:     31
    .vgpr_spill_count: 0
    .wavefront_size: 64
  - .agpr_count:     0
    .args:
      - .address_space:  global
        .offset:         0
        .size:           8
        .value_kind:     global_buffer
      - .address_space:  global
        .offset:         8
        .size:           8
        .value_kind:     global_buffer
      - .offset:         16
        .size:           1
        .value_kind:     by_value
    .group_segment_fixed_size: 0
    .kernarg_segment_align: 8
    .kernarg_segment_size: 20
    .language:       OpenCL C
    .language_version:
      - 2
      - 0
    .max_flat_workgroup_size: 256
    .name:           _Z16sort_keys_valuesILj256ELj6EfcN10test_utils7greaterEEvPT1_PT2_T3_
    .private_segment_fixed_size: 0
    .sgpr_count:     13
    .sgpr_spill_count: 0
    .symbol:         _Z16sort_keys_valuesILj256ELj6EfcN10test_utils7greaterEEvPT1_PT2_T3_.kd
    .uniform_work_group_size: 1
    .uses_dynamic_stack: false
    .vgpr_count:     14
    .vgpr_spill_count: 0
    .wavefront_size: 64
  - .agpr_count:     0
    .args:
      - .address_space:  global
        .offset:         0
        .size:           8
        .value_kind:     global_buffer
      - .address_space:  global
        .offset:         8
        .size:           8
        .value_kind:     global_buffer
      - .offset:         16
        .size:           1
        .value_kind:     by_value
    .group_segment_fixed_size: 0
    .kernarg_segment_align: 8
    .kernarg_segment_size: 20
    .language:       OpenCL C
    .language_version:
      - 2
      - 0
    .max_flat_workgroup_size: 256
    .name:           _Z16sort_keys_valuesILj256ELj5EtcN10test_utils4lessEEvPT1_PT2_T3_
    .private_segment_fixed_size: 0
    .sgpr_count:     16
    .sgpr_spill_count: 0
    .symbol:         _Z16sort_keys_valuesILj256ELj5EtcN10test_utils4lessEEvPT1_PT2_T3_.kd
    .uniform_work_group_size: 1
    .uses_dynamic_stack: false
    .vgpr_count:     14
    .vgpr_spill_count: 0
    .wavefront_size: 64
  - .agpr_count:     0
    .args:
      - .address_space:  global
        .offset:         0
        .size:           8
        .value_kind:     global_buffer
      - .address_space:  global
        .offset:         8
        .size:           8
        .value_kind:     global_buffer
      - .offset:         16
        .size:           1
        .value_kind:     by_value
    .group_segment_fixed_size: 0
    .kernarg_segment_align: 8
    .kernarg_segment_size: 20
    .language:       OpenCL C
    .language_version:
      - 2
      - 0
    .max_flat_workgroup_size: 256
    .name:           _Z16sort_keys_valuesILj256ELj4EjiN10test_utils4lessEEvPT1_PT2_T3_
    .private_segment_fixed_size: 0
    .sgpr_count:     11
    .sgpr_spill_count: 0
    .symbol:         _Z16sort_keys_valuesILj256ELj4EjiN10test_utils4lessEEvPT1_PT2_T3_.kd
    .uniform_work_group_size: 1
    .uses_dynamic_stack: false
    .vgpr_count:     12
    .vgpr_spill_count: 0
    .wavefront_size: 64
  - .agpr_count:     0
    .args:
      - .address_space:  global
        .offset:         0
        .size:           8
        .value_kind:     global_buffer
      - .address_space:  global
        .offset:         8
        .size:           8
        .value_kind:     global_buffer
      - .offset:         16
        .size:           1
        .value_kind:     by_value
    .group_segment_fixed_size: 0
    .kernarg_segment_align: 8
    .kernarg_segment_size: 20
    .language:       OpenCL C
    .language_version:
      - 2
      - 0
    .max_flat_workgroup_size: 256
    .name:           _Z16sort_keys_valuesILj256ELj3EiiN10test_utils4lessEEvPT1_PT2_T3_
    .private_segment_fixed_size: 0
    .sgpr_count:     11
    .sgpr_spill_count: 0
    .symbol:         _Z16sort_keys_valuesILj256ELj3EiiN10test_utils4lessEEvPT1_PT2_T3_.kd
    .uniform_work_group_size: 1
    .uses_dynamic_stack: false
    .vgpr_count:     12
    .vgpr_spill_count: 0
    .wavefront_size: 64
  - .agpr_count:     0
    .args:
      - .address_space:  global
        .offset:         0
        .size:           8
        .value_kind:     global_buffer
      - .address_space:  global
        .offset:         8
        .size:           8
        .value_kind:     global_buffer
      - .offset:         16
        .size:           1
        .value_kind:     by_value
    .group_segment_fixed_size: 0
    .kernarg_segment_align: 8
    .kernarg_segment_size: 20
    .language:       OpenCL C
    .language_version:
      - 2
      - 0
    .max_flat_workgroup_size: 256
    .name:           _Z16sort_keys_valuesILj256ELj2EjiN10test_utils4lessEEvPT1_PT2_T3_
    .private_segment_fixed_size: 0
    .sgpr_count:     11
    .sgpr_spill_count: 0
    .symbol:         _Z16sort_keys_valuesILj256ELj2EjiN10test_utils4lessEEvPT1_PT2_T3_.kd
    .uniform_work_group_size: 1
    .uses_dynamic_stack: false
    .vgpr_count:     7
    .vgpr_spill_count: 0
    .wavefront_size: 64
  - .agpr_count:     0
    .args:
      - .address_space:  global
        .offset:         0
        .size:           8
        .value_kind:     global_buffer
      - .address_space:  global
        .offset:         8
        .size:           8
        .value_kind:     global_buffer
      - .offset:         16
        .size:           1
        .value_kind:     by_value
    .group_segment_fixed_size: 0
    .kernarg_segment_align: 8
    .kernarg_segment_size: 20
    .language:       OpenCL C
    .language_version:
      - 2
      - 0
    .max_flat_workgroup_size: 256
    .name:           _Z16sort_keys_valuesILj256ELj1EiiN10test_utils4lessEEvPT1_PT2_T3_
    .private_segment_fixed_size: 0
    .sgpr_count:     4
    .sgpr_spill_count: 0
    .symbol:         _Z16sort_keys_valuesILj256ELj1EiiN10test_utils4lessEEvPT1_PT2_T3_.kd
    .uniform_work_group_size: 1
    .uses_dynamic_stack: false
    .vgpr_count:     0
    .vgpr_spill_count: 0
    .wavefront_size: 64
amdhsa.target:   amdgcn-amd-amdhsa--gfx90a
amdhsa.version:
  - 1
  - 2
...

	.end_amdgpu_metadata
